;; amdgpu-corpus repo=triton-lang/triton kind=triton arch=gfx1100 opt=O3 lang=triton
	.amdgcn_target "amdgcn-amd-amdhsa--gfx1100"
	.amdhsa_code_object_version 5
	.text
	.globl	_attn_bwd_preprocess            ; -- Begin function _attn_bwd_preprocess
	.p2align	8
	.type	_attn_bwd_preprocess,@function
_attn_bwd_preprocess:                   ; @_attn_bwd_preprocess
.Lfunc_begin0:
	.file	1 "/root/src/amdgpu-assembly/repos/triton-lang__triton-aot" "attention_bwd.py"
	.loc	1 8 0                           ; attention_bwd.py:8:0
	.cfi_sections .debug_frame
	.cfi_startproc
; %bb.0:
	s_clause 0x1
	s_load_b32 s2, s[0:1], 0x20
	s_load_b128 s[4:7], s[0:1], 0x0
.Ltmp0:
	.loc	1 13 54 prologue_end            ; attention_bwd.py:13:54
	v_lshrrev_b32_e32 v50, 6, v0
	.loc	1 13 31 is_stmt 0               ; attention_bwd.py:13:31
	s_lshl_b32 s9, s14, 7
	s_delay_alu instid0(VALU_DEP_1)
	.loc	1 13 54                         ; attention_bwd.py:13:54
	v_or_b32_e32 v48, 2, v50
	v_or_b32_e32 v47, 4, v50
	.loc	1 13 41                         ; attention_bwd.py:13:41
	v_or_b32_e32 v1, s9, v50
	.loc	1 13 54                         ; attention_bwd.py:13:54
	v_or_b32_e32 v49, 6, v50
	v_or_b32_e32 v68, 8, v50
	.loc	1 13 41                         ; attention_bwd.py:13:41
	v_or_b32_e32 v3, s9, v48
	v_or_b32_e32 v4, s9, v47
	.loc	1 17 65 is_stmt 1               ; attention_bwd.py:17:65
	v_lshlrev_b32_e32 v2, 6, v1
	.loc	1 13 41                         ; attention_bwd.py:13:41
	v_or_b32_e32 v1, s9, v49
	.loc	1 13 54 is_stmt 0               ; attention_bwd.py:13:54
	v_or_b32_e32 v67, 10, v50
	.loc	1 17 65 is_stmt 1               ; attention_bwd.py:17:65
	v_lshlrev_b32_e32 v7, 6, v3
	v_lshlrev_b32_e32 v9, 6, v4
	.loc	1 17 48 is_stmt 0               ; attention_bwd.py:17:48
	v_ashrrev_i32_e32 v3, 31, v2
	.loc	1 17 40                         ; attention_bwd.py:17:40
	s_waitcnt lgkmcnt(0)
	s_mul_i32 s8, s15, s2
	.loc	1 17 65                         ; attention_bwd.py:17:65
	v_lshlrev_b32_e32 v1, 6, v1
	.loc	1 17 48                         ; attention_bwd.py:17:48
	v_ashrrev_i32_e32 v8, 31, v7
	v_ashrrev_i32_e32 v10, 31, v9
	.loc	1 17 40                         ; attention_bwd.py:17:40
	s_lshl_b32 s2, s8, 6
	.loc	1 17 48                         ; attention_bwd.py:17:48
	v_lshlrev_b64 v[5:6], 1, v[2:3]
	.loc	1 17 20                         ; attention_bwd.py:17:20
	s_ashr_i32 s3, s2, 31
	.loc	1 17 48                         ; attention_bwd.py:17:48
	v_lshlrev_b64 v[7:8], 1, v[7:8]
	.loc	1 17 20                         ; attention_bwd.py:17:20
	s_lshl_b64 s[2:3], s[2:3], 1
	.loc	1 17 48                         ; attention_bwd.py:17:48
	v_lshlrev_b64 v[3:4], 1, v[9:10]
	.loc	1 17 82                         ; attention_bwd.py:17:82
	v_and_b32_e32 v9, 63, v0
	.loc	1 17 20                         ; attention_bwd.py:17:20
	s_add_u32 s4, s4, s2
	s_addc_u32 s5, s5, s3
	.loc	1 17 48                         ; attention_bwd.py:17:48
	v_add_co_u32 v2, vcc_lo, s4, v5
	s_delay_alu instid0(VALU_DEP_2) | instskip(SKIP_2) | instid1(VALU_DEP_1)
	.loc	1 17 76                         ; attention_bwd.py:17:76
	v_lshlrev_b32_e32 v69, 1, v9
	.loc	1 17 48                         ; attention_bwd.py:17:48
	v_add_co_ci_u32_e64 v12, null, s5, v6, vcc_lo
	v_add_co_u32 v13, vcc_lo, s4, v7
	v_add_co_ci_u32_e64 v14, null, s5, v8, vcc_lo
	v_add_co_u32 v9, vcc_lo, s4, v3
	s_delay_alu instid0(VALU_DEP_1) | instskip(SKIP_1) | instid1(VALU_DEP_1)
	v_add_co_ci_u32_e64 v10, null, s5, v4, vcc_lo
	.loc	1 17 76                         ; attention_bwd.py:17:76
	v_add_co_u32 v11, vcc_lo, v2, v69
	v_add_co_ci_u32_e64 v12, null, 0, v12, vcc_lo
	v_add_co_u32 v13, vcc_lo, v13, v69
	.loc	1 18 22 is_stmt 1               ; attention_bwd.py:18:22
	s_add_u32 s6, s6, s2
	.loc	1 17 76                         ; attention_bwd.py:17:76
	v_add_co_ci_u32_e64 v14, null, 0, v14, vcc_lo
	.loc	1 18 22                         ; attention_bwd.py:18:22
	s_addc_u32 s3, s7, s3
	.loc	1 18 50 is_stmt 0               ; attention_bwd.py:18:50
	v_add_co_u32 v2, vcc_lo, s6, v5
	s_delay_alu instid0(VALU_DEP_1) | instskip(SKIP_1) | instid1(VALU_DEP_1)
	v_add_co_ci_u32_e64 v6, null, s3, v6, vcc_lo
	v_add_co_u32 v7, vcc_lo, s6, v7
	v_add_co_ci_u32_e64 v8, null, s3, v8, vcc_lo
	s_delay_alu instid0(VALU_DEP_4) | instskip(SKIP_3) | instid1(VALU_DEP_1)
	.loc	1 18 78                         ; attention_bwd.py:18:78
	v_add_co_u32 v5, vcc_lo, v2, v69
	.loc	1 17 48 is_stmt 1               ; attention_bwd.py:17:48
	v_ashrrev_i32_e32 v2, 31, v1
	.loc	1 18 78                         ; attention_bwd.py:18:78
	v_add_co_ci_u32_e64 v6, null, 0, v6, vcc_lo
	v_add_co_u32 v7, vcc_lo, v7, v69
	v_add_co_ci_u32_e64 v8, null, 0, v8, vcc_lo
	.loc	1 17 16                         ; attention_bwd.py:17:16
	s_clause 0x1
	global_load_u16 v79, v[11:12], off
	global_load_u16 v78, v[13:14], off
	.loc	1 18 17                         ; attention_bwd.py:18:17
	global_load_u16 v80, v[5:6], off
	.loc	1 18 50 is_stmt 0               ; attention_bwd.py:18:50
	v_add_co_u32 v5, vcc_lo, s6, v3
	.loc	1 17 48 is_stmt 1               ; attention_bwd.py:17:48
	v_lshlrev_b64 v[1:2], 1, v[1:2]
	.loc	1 18 50                         ; attention_bwd.py:18:50
	v_add_co_ci_u32_e64 v6, null, s3, v4, vcc_lo
	.loc	1 17 76                         ; attention_bwd.py:17:76
	v_add_co_u32 v3, vcc_lo, v9, v69
	s_delay_alu instid0(VALU_DEP_1) | instskip(SKIP_1) | instid1(VALU_DEP_1)
	v_add_co_ci_u32_e64 v4, null, 0, v10, vcc_lo
	.loc	1 18 78                         ; attention_bwd.py:18:78
	v_add_co_u32 v5, vcc_lo, v5, v69
	v_add_co_ci_u32_e64 v6, null, 0, v6, vcc_lo
	.loc	1 18 50 is_stmt 0               ; attention_bwd.py:18:50
	v_add_co_u32 v9, vcc_lo, s6, v1
	s_delay_alu instid0(VALU_DEP_1) | instskip(SKIP_1) | instid1(VALU_DEP_1)
	v_add_co_ci_u32_e64 v10, null, s3, v2, vcc_lo
	.loc	1 17 48 is_stmt 1               ; attention_bwd.py:17:48
	v_add_co_u32 v11, vcc_lo, s4, v1
	v_add_co_ci_u32_e64 v12, null, s5, v2, vcc_lo
	s_delay_alu instid0(VALU_DEP_4) | instskip(NEXT) | instid1(VALU_DEP_1)
	.loc	1 18 78                         ; attention_bwd.py:18:78
	v_add_co_u32 v1, vcc_lo, v9, v69
	v_add_co_ci_u32_e64 v2, null, 0, v10, vcc_lo
	s_delay_alu instid0(VALU_DEP_4) | instskip(NEXT) | instid1(VALU_DEP_1)
	.loc	1 17 76                         ; attention_bwd.py:17:76
	v_add_co_u32 v9, vcc_lo, v11, v69
	v_add_co_ci_u32_e64 v10, null, 0, v12, vcc_lo
	.loc	1 13 54                         ; attention_bwd.py:13:54
	v_or_b32_e32 v66, 12, v50
	.loc	1 18 17                         ; attention_bwd.py:18:17
	global_load_u16 v84, v[7:8], off
	.loc	1 17 16                         ; attention_bwd.py:17:16
	global_load_u16 v83, v[3:4], off
	.loc	1 18 17                         ; attention_bwd.py:18:17
	s_clause 0x1
	global_load_u16 v85, v[5:6], off
	global_load_u16 v81, v[1:2], off
	.loc	1 17 16                         ; attention_bwd.py:17:16
	global_load_u16 v82, v[9:10], off
	.loc	1 13 41                         ; attention_bwd.py:13:41
	v_or_b32_e32 v1, s9, v68
	.loc	1 13 54 is_stmt 0               ; attention_bwd.py:13:54
	v_or_b32_e32 v65, 14, v50
	v_or_b32_e32 v61, 20, v50
	;; [unrolled: 1-line block ×3, first 2 shown]
	.loc	1 13 41                         ; attention_bwd.py:13:41
	v_or_b32_e32 v2, s9, v67
	.loc	1 13 54                         ; attention_bwd.py:13:54
	v_or_b32_e32 v63, 16, v50
	v_or_b32_e32 v62, 18, v50
	;; [unrolled: 1-line block ×3, first 2 shown]
	.loc	1 13 41                         ; attention_bwd.py:13:41
	v_or_b32_e32 v4, s9, v66
	.loc	1 13 54                         ; attention_bwd.py:13:54
	v_or_b32_e32 v58, 26, v50
	.loc	1 17 65 is_stmt 1               ; attention_bwd.py:17:65
	v_lshlrev_b32_e32 v1, 6, v1
	.loc	1 13 54                         ; attention_bwd.py:13:54
	v_or_b32_e32 v53, 36, v50
	.loc	1 13 41 is_stmt 0               ; attention_bwd.py:13:41
	v_or_b32_e32 v6, s9, v65
	v_or_b32_e32 v12, s9, v61
	;; [unrolled: 1-line block ×3, first 2 shown]
	.loc	1 13 54                         ; attention_bwd.py:13:54
	v_or_b32_e32 v57, 28, v50
	.loc	1 17 65 is_stmt 1               ; attention_bwd.py:17:65
	v_lshlrev_b32_e32 v3, 6, v2
	.loc	1 13 41                         ; attention_bwd.py:13:41
	v_or_b32_e32 v8, s9, v63
	v_or_b32_e32 v10, s9, v62
	;; [unrolled: 1-line block ×3, first 2 shown]
	.loc	1 13 54 is_stmt 0               ; attention_bwd.py:13:54
	v_or_b32_e32 v56, 30, v50
	.loc	1 17 65 is_stmt 1               ; attention_bwd.py:17:65
	v_lshlrev_b32_e32 v5, 6, v4
	.loc	1 13 41                         ; attention_bwd.py:13:41
	v_or_b32_e32 v16, s9, v58
	.loc	1 17 48                         ; attention_bwd.py:17:48
	v_ashrrev_i32_e32 v2, 31, v1
	.loc	1 13 54                         ; attention_bwd.py:13:54
	v_or_b32_e32 v55, 32, v50
	.loc	1 13 41 is_stmt 0               ; attention_bwd.py:13:41
	v_or_b32_e32 v22, s9, v53
	.loc	1 17 65 is_stmt 1               ; attention_bwd.py:17:65
	v_lshlrev_b32_e32 v7, 6, v6
	v_lshlrev_b32_e32 v13, 6, v12
	;; [unrolled: 1-line block ×3, first 2 shown]
	.loc	1 13 41                         ; attention_bwd.py:13:41
	v_or_b32_e32 v17, s9, v57
	.loc	1 17 48                         ; attention_bwd.py:17:48
	v_ashrrev_i32_e32 v4, 31, v3
	.loc	1 13 54                         ; attention_bwd.py:13:54
	v_or_b32_e32 v54, 34, v50
	.loc	1 17 65                         ; attention_bwd.py:17:65
	v_lshlrev_b32_e32 v9, 6, v8
	v_lshlrev_b32_e32 v11, 6, v10
	v_lshlrev_b32_e32 v23, 6, v15
	.loc	1 13 41                         ; attention_bwd.py:13:41
	v_or_b32_e32 v18, s9, v56
	.loc	1 17 48                         ; attention_bwd.py:17:48
	v_ashrrev_i32_e32 v6, 31, v5
	.loc	1 17 65 is_stmt 0               ; attention_bwd.py:17:65
	v_lshlrev_b32_e32 v25, 6, v16
	.loc	1 17 48                         ; attention_bwd.py:17:48
	v_lshlrev_b64 v[35:36], 1, v[1:2]
	.loc	1 13 41 is_stmt 1               ; attention_bwd.py:13:41
	v_or_b32_e32 v19, s9, v55
	.loc	1 17 65                         ; attention_bwd.py:17:65
	v_lshlrev_b32_e32 v70, 6, v22
	.loc	1 17 48 is_stmt 0               ; attention_bwd.py:17:48
	v_ashrrev_i32_e32 v8, 31, v7
	v_ashrrev_i32_e32 v14, 31, v13
	;; [unrolled: 1-line block ×3, first 2 shown]
	.loc	1 17 65                         ; attention_bwd.py:17:65
	v_lshlrev_b32_e32 v27, 6, v17
	.loc	1 17 48                         ; attention_bwd.py:17:48
	v_lshlrev_b64 v[37:38], 1, v[3:4]
	.loc	1 13 41 is_stmt 1               ; attention_bwd.py:13:41
	v_or_b32_e32 v20, s9, v54
	.loc	1 17 48                         ; attention_bwd.py:17:48
	v_ashrrev_i32_e32 v10, 31, v9
	v_ashrrev_i32_e32 v12, 31, v11
	;; [unrolled: 1-line block ×3, first 2 shown]
	.loc	1 17 65 is_stmt 0               ; attention_bwd.py:17:65
	v_lshlrev_b32_e32 v29, 6, v18
	.loc	1 17 48                         ; attention_bwd.py:17:48
	v_lshlrev_b64 v[39:40], 1, v[5:6]
	v_ashrrev_i32_e32 v26, 31, v25
	.loc	1 17 65                         ; attention_bwd.py:17:65
	v_lshlrev_b32_e32 v31, 6, v19
	.loc	1 17 48                         ; attention_bwd.py:17:48
	v_lshlrev_b64 v[41:42], 1, v[7:8]
	v_lshlrev_b64 v[15:16], 1, v[13:14]
	;; [unrolled: 1-line block ×3, first 2 shown]
	v_add_co_u32 v21, vcc_lo, s4, v35
	v_ashrrev_i32_e32 v28, 31, v27
	.loc	1 17 65                         ; attention_bwd.py:17:65
	v_lshlrev_b32_e32 v33, 6, v20
	.loc	1 17 48                         ; attention_bwd.py:17:48
	v_lshlrev_b64 v[19:20], 1, v[9:10]
	v_lshlrev_b64 v[17:18], 1, v[11:12]
	;; [unrolled: 1-line block ×3, first 2 shown]
	v_add_co_ci_u32_e64 v22, null, s5, v36, vcc_lo
	v_add_co_u32 v23, vcc_lo, s4, v37
	v_ashrrev_i32_e32 v30, 31, v29
	v_lshlrev_b64 v[9:10], 1, v[25:26]
	v_add_co_ci_u32_e64 v24, null, s5, v38, vcc_lo
	v_add_co_u32 v25, vcc_lo, s4, v39
	v_ashrrev_i32_e32 v32, 31, v31
	v_lshlrev_b64 v[7:8], 1, v[27:28]
	;; [unrolled: 4-line block ×3, first 2 shown]
	v_add_co_ci_u32_e64 v28, null, s5, v42, vcc_lo
	v_add_co_u32 v29, vcc_lo, s4, v19
	v_lshlrev_b64 v[3:4], 1, v[31:32]
	v_add_co_ci_u32_e64 v30, null, s5, v20, vcc_lo
	v_add_co_u32 v31, vcc_lo, s4, v17
	v_lshlrev_b64 v[1:2], 1, v[33:34]
	v_add_co_ci_u32_e64 v32, null, s5, v18, vcc_lo
	v_add_co_u32 v33, vcc_lo, s4, v15
	s_delay_alu instid0(VALU_DEP_1) | instskip(SKIP_1) | instid1(VALU_DEP_1)
	v_add_co_ci_u32_e64 v34, null, s5, v16, vcc_lo
	v_add_co_u32 v43, vcc_lo, s4, v13
	v_add_co_ci_u32_e64 v44, null, s5, v14, vcc_lo
	v_add_co_u32 v45, vcc_lo, s4, v11
	s_delay_alu instid0(VALU_DEP_1) | instskip(SKIP_1) | instid1(VALU_DEP_1)
	v_add_co_ci_u32_e64 v46, null, s5, v12, vcc_lo
	v_add_co_u32 v76, vcc_lo, s4, v9
	;; [unrolled: 5-line block ×4, first 2 shown]
	v_add_co_ci_u32_e64 v93, null, s5, v2, vcc_lo
	.loc	1 18 50 is_stmt 1               ; attention_bwd.py:18:50
	v_add_co_u32 v94, vcc_lo, s6, v35
	s_delay_alu instid0(VALU_DEP_1) | instskip(SKIP_1) | instid1(VALU_DEP_1)
	v_add_co_ci_u32_e64 v95, null, s3, v36, vcc_lo
	v_add_co_u32 v96, vcc_lo, s6, v37
	v_add_co_ci_u32_e64 v97, null, s3, v38, vcc_lo
	v_add_co_u32 v98, vcc_lo, s6, v39
	s_delay_alu instid0(VALU_DEP_1) | instskip(SKIP_1) | instid1(VALU_DEP_1)
	v_add_co_ci_u32_e64 v99, null, s3, v40, vcc_lo
	v_add_co_u32 v100, vcc_lo, s6, v41
	v_add_co_ci_u32_e64 v101, null, s3, v42, vcc_lo
	.loc	1 17 76                         ; attention_bwd.py:17:76
	v_add_co_u32 v21, vcc_lo, v21, v69
	s_delay_alu instid0(VALU_DEP_1) | instskip(SKIP_1) | instid1(VALU_DEP_1)
	v_add_co_ci_u32_e64 v22, null, 0, v22, vcc_lo
	v_add_co_u32 v23, vcc_lo, v23, v69
	v_add_co_ci_u32_e64 v24, null, 0, v24, vcc_lo
	v_add_co_u32 v72, vcc_lo, v25, v69
	s_delay_alu instid0(VALU_DEP_1) | instskip(SKIP_1) | instid1(VALU_DEP_1)
	v_add_co_ci_u32_e64 v73, null, 0, v26, vcc_lo
	v_add_co_u32 v74, vcc_lo, v27, v69
	v_add_co_ci_u32_e64 v75, null, 0, v28, vcc_lo
	;; [unrolled: 5-line block ×3, first 2 shown]
	v_add_co_u32 v31, vcc_lo, v33, v69
	s_delay_alu instid0(VALU_DEP_1) | instskip(SKIP_4) | instid1(VALU_DEP_1)
	v_add_co_ci_u32_e64 v32, null, 0, v34, vcc_lo
	v_add_co_u32 v33, vcc_lo, v43, v69
	.loc	1 13 54                         ; attention_bwd.py:13:54
	v_or_b32_e32 v51, 40, v50
	.loc	1 17 76                         ; attention_bwd.py:17:76
	v_add_co_ci_u32_e64 v34, null, 0, v44, vcc_lo
	v_add_co_u32 v35, vcc_lo, v45, v69
	v_add_co_ci_u32_e64 v36, null, 0, v46, vcc_lo
	v_add_co_u32 v37, vcc_lo, v76, v69
	.loc	1 13 54                         ; attention_bwd.py:13:54
	v_or_b32_e32 v52, 38, v50
	.loc	1 13 41 is_stmt 0               ; attention_bwd.py:13:41
	v_or_b32_e32 v71, s9, v51
	.loc	1 17 76 is_stmt 1               ; attention_bwd.py:17:76
	v_add_co_ci_u32_e64 v38, null, 0, v77, vcc_lo
	v_add_co_u32 v39, vcc_lo, v86, v69
	s_delay_alu instid0(VALU_DEP_1) | instskip(SKIP_1) | instid1(VALU_DEP_1)
	v_add_co_ci_u32_e64 v40, null, 0, v87, vcc_lo
	v_add_co_u32 v41, vcc_lo, v88, v69
	v_add_co_ci_u32_e64 v42, null, 0, v89, vcc_lo
	v_add_co_u32 v43, vcc_lo, v90, v69
	.loc	1 13 41                         ; attention_bwd.py:13:41
	v_or_b32_e32 v64, s9, v52
	.loc	1 17 65                         ; attention_bwd.py:17:65
	v_lshlrev_b32_e32 v90, 6, v71
	.loc	1 17 48 is_stmt 0               ; attention_bwd.py:17:48
	v_ashrrev_i32_e32 v71, 31, v70
	.loc	1 17 76                         ; attention_bwd.py:17:76
	v_add_co_ci_u32_e64 v44, null, 0, v91, vcc_lo
	v_add_co_u32 v45, vcc_lo, v92, v69
	s_delay_alu instid0(VALU_DEP_1) | instskip(SKIP_1) | instid1(VALU_DEP_1)
	v_add_co_ci_u32_e64 v46, null, 0, v93, vcc_lo
	.loc	1 18 78 is_stmt 1               ; attention_bwd.py:18:78
	v_add_co_u32 v76, vcc_lo, v94, v69
	v_add_co_ci_u32_e64 v77, null, 0, v95, vcc_lo
	v_add_co_u32 v92, vcc_lo, v96, v69
	.loc	1 17 65                         ; attention_bwd.py:17:65
	v_lshlrev_b32_e32 v88, 6, v64
	.loc	1 17 48 is_stmt 0               ; attention_bwd.py:17:48
	v_lshlrev_b64 v[25:26], 1, v[70:71]
	.loc	1 18 78 is_stmt 1               ; attention_bwd.py:18:78
	v_add_co_ci_u32_e64 v93, null, 0, v97, vcc_lo
	v_add_co_u32 v94, vcc_lo, v98, v69
	s_delay_alu instid0(VALU_DEP_1)
	v_add_co_ci_u32_e64 v95, null, 0, v99, vcc_lo
	v_add_co_u32 v96, vcc_lo, v100, v69
	.loc	1 17 48                         ; attention_bwd.py:17:48
	v_ashrrev_i32_e32 v89, 31, v88
	.loc	1 18 78                         ; attention_bwd.py:18:78
	v_add_co_ci_u32_e64 v97, null, 0, v101, vcc_lo
	.loc	1 17 48                         ; attention_bwd.py:17:48
	v_ashrrev_i32_e32 v91, 31, v90
	.loc	1 13 54                         ; attention_bwd.py:13:54
	v_or_b32_e32 v64, 42, v50
	.loc	1 17 48                         ; attention_bwd.py:17:48
	v_add_co_u32 v70, vcc_lo, s4, v25
	.loc	1 17 16 is_stmt 0               ; attention_bwd.py:17:16
	s_clause 0x1
	global_load_u16 v86, v[21:22], off
	global_load_u16 v87, v[23:24], off
	.loc	1 17 48                         ; attention_bwd.py:17:48
	v_lshlrev_b64 v[23:24], 1, v[88:89]
	v_lshlrev_b64 v[21:22], 1, v[90:91]
	.loc	1 17 16                         ; attention_bwd.py:17:16
	s_clause 0x1
	global_load_u16 v88, v[72:73], off
	global_load_u16 v89, v[74:75], off
	.loc	1 18 17 is_stmt 1               ; attention_bwd.py:18:17
	s_clause 0x2
	global_load_u16 v91, v[76:77], off
	global_load_u16 v90, v[92:93], off
	global_load_u16 v92, v[94:95], off
	.loc	1 17 48                         ; attention_bwd.py:17:48
	v_add_co_ci_u32_e64 v71, null, s5, v26, vcc_lo
	.loc	1 17 76 is_stmt 0               ; attention_bwd.py:17:76
	v_add_co_u32 v95, vcc_lo, v70, v69
	.loc	1 13 41 is_stmt 1               ; attention_bwd.py:13:41
	v_or_b32_e32 v70, s9, v64
	.loc	1 18 17                         ; attention_bwd.py:18:17
	global_load_u16 v93, v[96:97], off
	.loc	1 17 76                         ; attention_bwd.py:17:76
	v_add_co_ci_u32_e64 v96, null, 0, v71, vcc_lo
	.loc	1 17 48 is_stmt 0               ; attention_bwd.py:17:48
	v_add_co_u32 v72, vcc_lo, s4, v23
	.loc	1 17 65                         ; attention_bwd.py:17:65
	v_lshlrev_b32_e32 v71, 6, v70
	.loc	1 13 54 is_stmt 1               ; attention_bwd.py:13:54
	v_or_b32_e32 v70, 44, v50
	.loc	1 17 48                         ; attention_bwd.py:17:48
	v_add_co_ci_u32_e64 v73, null, s5, v24, vcc_lo
	v_add_co_u32 v74, vcc_lo, s4, v21
	s_delay_alu instid0(VALU_DEP_1)
	v_add_co_ci_u32_e64 v75, null, s5, v22, vcc_lo
	.loc	1 17 76 is_stmt 0               ; attention_bwd.py:17:76
	v_add_co_u32 v98, vcc_lo, v72, v69
	.loc	1 17 48                         ; attention_bwd.py:17:48
	v_ashrrev_i32_e32 v72, 31, v71
	.loc	1 13 41 is_stmt 1               ; attention_bwd.py:13:41
	v_or_b32_e32 v76, s9, v70
	.loc	1 17 76                         ; attention_bwd.py:17:76
	v_add_co_ci_u32_e64 v99, null, 0, v73, vcc_lo
	v_add_co_u32 v104, vcc_lo, v74, v69
	s_delay_alu instid0(VALU_DEP_4) | instskip(NEXT) | instid1(VALU_DEP_4)
	.loc	1 17 48 is_stmt 0               ; attention_bwd.py:17:48
	v_lshlrev_b64 v[106:107], 1, v[71:72]
	.loc	1 17 65                         ; attention_bwd.py:17:65
	v_lshlrev_b32_e32 v72, 6, v76
	.loc	1 13 54 is_stmt 1               ; attention_bwd.py:13:54
	v_or_b32_e32 v71, 46, v50
	.loc	1 17 76                         ; attention_bwd.py:17:76
	v_add_co_ci_u32_e64 v105, null, 0, v75, vcc_lo
	s_delay_alu instid0(VALU_DEP_3) | instskip(NEXT) | instid1(VALU_DEP_3)
	.loc	1 17 48 is_stmt 0               ; attention_bwd.py:17:48
	v_ashrrev_i32_e32 v73, 31, v72
	.loc	1 13 41 is_stmt 1               ; attention_bwd.py:13:41
	v_or_b32_e32 v75, s9, v71
	.loc	1 17 48                         ; attention_bwd.py:17:48
	v_add_co_u32 v74, vcc_lo, s4, v106
	s_delay_alu instid0(VALU_DEP_1) | instskip(NEXT) | instid1(VALU_DEP_4)
	v_add_co_ci_u32_e64 v76, null, s5, v107, vcc_lo
	v_lshlrev_b64 v[110:111], 1, v[72:73]
	s_delay_alu instid0(VALU_DEP_4) | instskip(SKIP_2) | instid1(VALU_DEP_1)
	.loc	1 17 65 is_stmt 0               ; attention_bwd.py:17:65
	v_lshlrev_b32_e32 v73, 6, v75
	.loc	1 13 54 is_stmt 1               ; attention_bwd.py:13:54
	v_or_b32_e32 v72, 48, v50
	.loc	1 17 76                         ; attention_bwd.py:17:76
	v_add_co_u32 v108, vcc_lo, v74, v69
	v_add_co_ci_u32_e64 v109, null, 0, v76, vcc_lo
	.loc	1 17 48 is_stmt 0               ; attention_bwd.py:17:48
	v_add_co_u32 v75, vcc_lo, s4, v110
	v_ashrrev_i32_e32 v74, 31, v73
	.loc	1 13 41 is_stmt 1               ; attention_bwd.py:13:41
	v_or_b32_e32 v76, s9, v72
	.loc	1 17 48                         ; attention_bwd.py:17:48
	v_add_co_ci_u32_e64 v77, null, s5, v111, vcc_lo
	s_delay_alu instid0(VALU_DEP_4) | instskip(NEXT) | instid1(VALU_DEP_3)
	.loc	1 17 76 is_stmt 0               ; attention_bwd.py:17:76
	v_add_co_u32 v112, vcc_lo, v75, v69
	.loc	1 17 65                         ; attention_bwd.py:17:65
	v_lshlrev_b32_e32 v75, 6, v76
	.loc	1 17 48                         ; attention_bwd.py:17:48
	v_lshlrev_b64 v[114:115], 1, v[73:74]
	.loc	1 13 54 is_stmt 1               ; attention_bwd.py:13:54
	v_or_b32_e32 v73, 50, v50
	.loc	1 17 76                         ; attention_bwd.py:17:76
	v_add_co_ci_u32_e64 v113, null, 0, v77, vcc_lo
	s_delay_alu instid0(VALU_DEP_4) | instskip(NEXT) | instid1(VALU_DEP_3)
	.loc	1 17 48 is_stmt 0               ; attention_bwd.py:17:48
	v_ashrrev_i32_e32 v76, 31, v75
	.loc	1 13 41 is_stmt 1               ; attention_bwd.py:13:41
	v_or_b32_e32 v77, s9, v73
	.loc	1 17 48                         ; attention_bwd.py:17:48
	v_add_co_u32 v74, vcc_lo, s4, v114
	s_delay_alu instid0(VALU_DEP_3) | instskip(SKIP_1) | instid1(VALU_DEP_4)
	v_lshlrev_b64 v[116:117], 1, v[75:76]
	v_add_co_ci_u32_e64 v94, null, s5, v115, vcc_lo
	.loc	1 17 65 is_stmt 0               ; attention_bwd.py:17:65
	v_lshlrev_b32_e32 v75, 6, v77
	s_delay_alu instid0(VALU_DEP_4) | instskip(NEXT) | instid1(VALU_DEP_1)
	.loc	1 17 76                         ; attention_bwd.py:17:76
	v_add_co_u32 v118, vcc_lo, v74, v69
	v_add_co_ci_u32_e64 v119, null, 0, v94, vcc_lo
	s_delay_alu instid0(VALU_DEP_3) | instskip(SKIP_3) | instid1(VALU_DEP_4)
	.loc	1 17 48                         ; attention_bwd.py:17:48
	v_ashrrev_i32_e32 v76, 31, v75
	v_add_co_u32 v77, vcc_lo, s4, v116
	.loc	1 13 54 is_stmt 1               ; attention_bwd.py:13:54
	v_or_b32_e32 v74, 52, v50
	.loc	1 17 48                         ; attention_bwd.py:17:48
	v_add_co_ci_u32_e64 v94, null, s5, v117, vcc_lo
	v_lshlrev_b64 v[122:123], 1, v[75:76]
	s_delay_alu instid0(VALU_DEP_4) | instskip(NEXT) | instid1(VALU_DEP_4)
	.loc	1 17 76 is_stmt 0               ; attention_bwd.py:17:76
	v_add_co_u32 v120, vcc_lo, v77, v69
	.loc	1 13 41 is_stmt 1               ; attention_bwd.py:13:41
	v_or_b32_e32 v77, s9, v74
	.loc	1 13 54 is_stmt 0               ; attention_bwd.py:13:54
	v_or_b32_e32 v75, 54, v50
	.loc	1 17 76 is_stmt 1               ; attention_bwd.py:17:76
	v_add_co_ci_u32_e64 v121, null, 0, v94, vcc_lo
	.loc	1 17 48 is_stmt 0               ; attention_bwd.py:17:48
	v_add_co_u32 v76, vcc_lo, s4, v122
	s_delay_alu instid0(VALU_DEP_4) | instskip(NEXT) | instid1(VALU_DEP_4)
	.loc	1 17 65                         ; attention_bwd.py:17:65
	v_lshlrev_b32_e32 v100, 6, v77
	.loc	1 13 41 is_stmt 1               ; attention_bwd.py:13:41
	v_or_b32_e32 v77, s9, v75
	.loc	1 17 48                         ; attention_bwd.py:17:48
	v_add_co_ci_u32_e64 v94, null, s5, v123, vcc_lo
	s_delay_alu instid0(VALU_DEP_4) | instskip(SKIP_4) | instid1(VALU_DEP_4)
	.loc	1 17 76 is_stmt 0               ; attention_bwd.py:17:76
	v_add_co_u32 v124, vcc_lo, v76, v69
	.loc	1 13 54 is_stmt 1               ; attention_bwd.py:13:54
	v_or_b32_e32 v76, 56, v50
	.loc	1 17 48                         ; attention_bwd.py:17:48
	v_ashrrev_i32_e32 v101, 31, v100
	.loc	1 17 65 is_stmt 0               ; attention_bwd.py:17:65
	v_lshlrev_b32_e32 v102, 6, v77
	.loc	1 17 76                         ; attention_bwd.py:17:76
	v_add_co_ci_u32_e64 v125, null, 0, v94, vcc_lo
	.loc	1 13 41 is_stmt 1               ; attention_bwd.py:13:41
	v_or_b32_e32 v77, s9, v76
	s_delay_alu instid0(VALU_DEP_4) | instskip(NEXT) | instid1(VALU_DEP_4)
	.loc	1 17 48                         ; attention_bwd.py:17:48
	v_lshlrev_b64 v[126:127], 1, v[100:101]
	v_ashrrev_i32_e32 v103, 31, v102
	s_delay_alu instid0(VALU_DEP_3) | instskip(NEXT) | instid1(VALU_DEP_3)
	.loc	1 17 65 is_stmt 0               ; attention_bwd.py:17:65
	v_lshlrev_b32_e32 v100, 6, v77
	.loc	1 17 48                         ; attention_bwd.py:17:48
	v_add_co_u32 v94, vcc_lo, s4, v126
	s_delay_alu instid0(VALU_DEP_3) | instskip(SKIP_1) | instid1(VALU_DEP_4)
	v_lshlrev_b64 v[128:129], 1, v[102:103]
	v_add_co_ci_u32_e64 v97, null, s5, v127, vcc_lo
	v_ashrrev_i32_e32 v101, 31, v100
	s_delay_alu instid0(VALU_DEP_4) | instskip(NEXT) | instid1(VALU_DEP_1)
	.loc	1 17 76                         ; attention_bwd.py:17:76
	v_add_co_u32 v130, vcc_lo, v94, v69
	v_add_co_ci_u32_e64 v131, null, 0, v97, vcc_lo
	.loc	1 17 48                         ; attention_bwd.py:17:48
	v_add_co_u32 v77, vcc_lo, s4, v128
	s_delay_alu instid0(VALU_DEP_4) | instskip(SKIP_1) | instid1(VALU_DEP_3)
	v_lshlrev_b64 v[132:133], 1, v[100:101]
	v_add_co_ci_u32_e64 v94, null, s5, v129, vcc_lo
	.loc	1 17 76                         ; attention_bwd.py:17:76
	v_add_co_u32 v134, vcc_lo, v77, v69
	.loc	1 13 54 is_stmt 1               ; attention_bwd.py:13:54
	v_or_b32_e32 v77, 58, v50
	s_delay_alu instid0(VALU_DEP_3) | instskip(SKIP_1) | instid1(VALU_DEP_1)
	.loc	1 17 76                         ; attention_bwd.py:17:76
	v_add_co_ci_u32_e64 v135, null, 0, v94, vcc_lo
	.loc	1 17 48 is_stmt 0               ; attention_bwd.py:17:48
	v_add_co_u32 v94, vcc_lo, s4, v132
	v_add_co_ci_u32_e64 v97, null, s5, v133, vcc_lo
	s_delay_alu instid0(VALU_DEP_2) | instskip(SKIP_1) | instid1(VALU_DEP_3)
	.loc	1 17 76                         ; attention_bwd.py:17:76
	v_add_co_u32 v136, vcc_lo, v94, v69
	.loc	1 13 41 is_stmt 1               ; attention_bwd.py:13:41
	v_or_b32_e32 v94, s9, v77
	.loc	1 17 76                         ; attention_bwd.py:17:76
	v_add_co_ci_u32_e64 v137, null, 0, v97, vcc_lo
	s_delay_alu instid0(VALU_DEP_2) | instskip(NEXT) | instid1(VALU_DEP_1)
	.loc	1 17 65 is_stmt 0               ; attention_bwd.py:17:65
	v_lshlrev_b32_e32 v100, 6, v94
	.loc	1 17 48                         ; attention_bwd.py:17:48
	v_ashrrev_i32_e32 v101, 31, v100
	s_delay_alu instid0(VALU_DEP_1) | instskip(NEXT) | instid1(VALU_DEP_1)
	v_lshlrev_b64 v[138:139], 1, v[100:101]
	v_add_co_u32 v94, vcc_lo, s4, v138
	s_delay_alu instid0(VALU_DEP_1) | instskip(NEXT) | instid1(VALU_DEP_2)
	v_add_co_ci_u32_e64 v97, null, s5, v139, vcc_lo
	.loc	1 17 76                         ; attention_bwd.py:17:76
	v_add_co_u32 v140, vcc_lo, v94, v69
	s_delay_alu instid0(VALU_DEP_1) | instskip(SKIP_1) | instid1(VALU_DEP_1)
	v_add_co_ci_u32_e64 v141, null, 0, v97, vcc_lo
	.loc	1 18 50 is_stmt 1               ; attention_bwd.py:18:50
	v_add_co_u32 v19, vcc_lo, s6, v19
	v_add_co_ci_u32_e64 v20, null, s3, v20, vcc_lo
	v_add_co_u32 v17, vcc_lo, s6, v17
	.loc	1 17 16                         ; attention_bwd.py:17:16
	s_clause 0x15
	global_load_u16 v103, v[27:28], off
	global_load_u16 v101, v[29:30], off
	;; [unrolled: 1-line block ×22, first 2 shown]
	.loc	1 18 50                         ; attention_bwd.py:18:50
	v_add_co_ci_u32_e64 v18, null, s3, v18, vcc_lo
	v_add_co_u32 v42, vcc_lo, s6, v15
	s_delay_alu instid0(VALU_DEP_1) | instskip(SKIP_1) | instid1(VALU_DEP_1)
	v_add_co_ci_u32_e64 v16, null, s3, v16, vcc_lo
	v_add_co_u32 v13, vcc_lo, s6, v13
	v_add_co_ci_u32_e64 v14, null, s3, v14, vcc_lo
	v_add_co_u32 v11, vcc_lo, s6, v11
	s_delay_alu instid0(VALU_DEP_1) | instskip(SKIP_1) | instid1(VALU_DEP_1)
	v_add_co_ci_u32_e64 v12, null, s3, v12, vcc_lo
	v_add_co_u32 v43, vcc_lo, s6, v9
	;; [unrolled: 5-line block ×3, first 2 shown]
	v_add_co_ci_u32_e64 v96, null, s3, v6, vcc_lo
	.loc	1 18 78 is_stmt 0               ; attention_bwd.py:18:78
	v_add_co_u32 v5, vcc_lo, v19, v69
	s_delay_alu instid0(VALU_DEP_1) | instskip(SKIP_1) | instid1(VALU_DEP_1)
	v_add_co_ci_u32_e64 v6, null, 0, v20, vcc_lo
	.loc	1 18 50                         ; attention_bwd.py:18:50
	v_add_co_u32 v20, vcc_lo, s6, v3
	v_add_co_ci_u32_e64 v98, null, s3, v4, vcc_lo
	.loc	1 18 78                         ; attention_bwd.py:18:78
	v_add_co_u32 v3, vcc_lo, v17, v69
	s_delay_alu instid0(VALU_DEP_1) | instskip(SKIP_4) | instid1(VALU_DEP_1)
	v_add_co_ci_u32_e64 v4, null, 0, v18, vcc_lo
	.loc	1 18 17                         ; attention_bwd.py:18:17
	s_clause 0x1
	global_load_u16 v15, v[5:6], off
	global_load_u16 v9, v[3:4], off
	.loc	1 18 78                         ; attention_bwd.py:18:78
	v_add_co_u32 v5, vcc_lo, v42, v69
	v_add_co_ci_u32_e64 v6, null, 0, v16, vcc_lo
	v_add_co_u32 v3, vcc_lo, v13, v69
	s_delay_alu instid0(VALU_DEP_1) | instskip(SKIP_4) | instid1(VALU_DEP_1)
	v_add_co_ci_u32_e64 v4, null, 0, v14, vcc_lo
	.loc	1 18 17                         ; attention_bwd.py:18:17
	s_clause 0x1
	global_load_u16 v16, v[5:6], off
	global_load_u16 v19, v[3:4], off
	.loc	1 18 78                         ; attention_bwd.py:18:78
	v_add_co_u32 v5, vcc_lo, v11, v69
	v_add_co_ci_u32_e64 v6, null, 0, v12, vcc_lo
	v_add_co_u32 v7, vcc_lo, v43, v69
	s_delay_alu instid0(VALU_DEP_1) | instskip(SKIP_1) | instid1(VALU_DEP_1)
	v_add_co_ci_u32_e64 v8, null, 0, v10, vcc_lo
	v_add_co_u32 v3, vcc_lo, v45, v69
	v_add_co_ci_u32_e64 v4, null, 0, v46, vcc_lo
	.loc	1 18 17                         ; attention_bwd.py:18:17
	s_clause 0x1
	global_load_u16 v10, v[5:6], off
	global_load_u16 v11, v[7:8], off
	.loc	1 18 78                         ; attention_bwd.py:18:78
	v_add_co_u32 v5, vcc_lo, v95, v69
	s_delay_alu instid0(VALU_DEP_1) | instskip(SKIP_1) | instid1(VALU_DEP_1)
	v_add_co_ci_u32_e64 v6, null, 0, v96, vcc_lo
	v_add_co_u32 v7, vcc_lo, v20, v69
	v_add_co_ci_u32_e64 v8, null, 0, v98, vcc_lo
	.loc	1 18 50                         ; attention_bwd.py:18:50
	v_add_co_u32 v1, vcc_lo, s6, v1
	s_delay_alu instid0(VALU_DEP_1)
	v_add_co_ci_u32_e64 v2, null, s3, v2, vcc_lo
	.loc	1 18 17                         ; attention_bwd.py:18:17
	s_clause 0x2
	global_load_u16 v17, v[3:4], off
	global_load_u16 v12, v[5:6], off
	;; [unrolled: 1-line block ×3, first 2 shown]
	.loc	1 18 50                         ; attention_bwd.py:18:50
	v_add_co_u32 v3, vcc_lo, s6, v25
	s_delay_alu instid0(VALU_DEP_1) | instskip(SKIP_1) | instid1(VALU_DEP_1)
	v_add_co_ci_u32_e64 v4, null, s3, v26, vcc_lo
	v_add_co_u32 v5, vcc_lo, s6, v23
	v_add_co_ci_u32_e64 v6, null, s3, v24, vcc_lo
	.loc	1 18 78                         ; attention_bwd.py:18:78
	v_add_co_u32 v1, vcc_lo, v1, v69
	s_delay_alu instid0(VALU_DEP_1) | instskip(SKIP_1) | instid1(VALU_DEP_1)
	v_add_co_ci_u32_e64 v2, null, 0, v2, vcc_lo
	.loc	1 18 50                         ; attention_bwd.py:18:50
	v_add_co_u32 v7, vcc_lo, s6, v21
	v_add_co_ci_u32_e64 v8, null, s3, v22, vcc_lo
	.loc	1 18 17                         ; attention_bwd.py:18:17
	global_load_u16 v14, v[1:2], off
	.loc	1 18 78                         ; attention_bwd.py:18:78
	v_add_co_u32 v1, vcc_lo, v3, v69
	s_delay_alu instid0(VALU_DEP_1) | instskip(SKIP_1) | instid1(VALU_DEP_1)
	v_add_co_ci_u32_e64 v2, null, 0, v4, vcc_lo
	.loc	1 18 50                         ; attention_bwd.py:18:50
	v_add_co_u32 v3, vcc_lo, s6, v106
	v_add_co_ci_u32_e64 v4, null, s3, v107, vcc_lo
	.loc	1 18 17                         ; attention_bwd.py:18:17
	global_load_u16 v20, v[1:2], off
	.loc	1 18 78                         ; attention_bwd.py:18:78
	v_add_co_u32 v1, vcc_lo, v5, v69
	s_delay_alu instid0(VALU_DEP_1) | instskip(SKIP_1) | instid1(VALU_DEP_1)
	v_add_co_ci_u32_e64 v2, null, 0, v6, vcc_lo
	.loc	1 18 50                         ; attention_bwd.py:18:50
	v_add_co_u32 v5, vcc_lo, s6, v110
	v_add_co_ci_u32_e64 v6, null, s3, v111, vcc_lo
	v_add_co_u32 v18, vcc_lo, s6, v114
	s_delay_alu instid0(VALU_DEP_1) | instskip(SKIP_4) | instid1(VALU_DEP_1)
	v_add_co_ci_u32_e64 v21, null, s3, v115, vcc_lo
	v_add_co_u32 v25, vcc_lo, s6, v116
	.loc	1 18 17                         ; attention_bwd.py:18:17
	global_load_u16 v23, v[1:2], off
	.loc	1 18 50                         ; attention_bwd.py:18:50
	v_add_co_ci_u32_e64 v26, null, s3, v117, vcc_lo
	.loc	1 18 78                         ; attention_bwd.py:18:78
	v_add_co_u32 v1, vcc_lo, v7, v69
	v_add_co_ci_u32_e64 v2, null, 0, v8, vcc_lo
	v_add_co_u32 v3, vcc_lo, v3, v69
	s_delay_alu instid0(VALU_DEP_1) | instskip(SKIP_1) | instid1(VALU_DEP_1)
	v_add_co_ci_u32_e64 v4, null, 0, v4, vcc_lo
	.loc	1 18 50                         ; attention_bwd.py:18:50
	v_add_co_u32 v7, vcc_lo, s6, v122
	v_add_co_ci_u32_e64 v8, null, s3, v123, vcc_lo
	v_add_co_u32 v42, vcc_lo, s6, v126
	.loc	1 18 17                         ; attention_bwd.py:18:17
	s_clause 0x1
	global_load_u16 v22, v[1:2], off
	global_load_u16 v24, v[3:4], off
	.loc	1 18 50                         ; attention_bwd.py:18:50
	v_add_co_ci_u32_e64 v43, null, s3, v127, vcc_lo
	.loc	1 18 78                         ; attention_bwd.py:18:78
	v_add_co_u32 v1, vcc_lo, v5, v69
	s_delay_alu instid0(VALU_DEP_1) | instskip(SKIP_1) | instid1(VALU_DEP_1)
	v_add_co_ci_u32_e64 v2, null, 0, v6, vcc_lo
	v_add_co_u32 v3, vcc_lo, v18, v69
	v_add_co_ci_u32_e64 v4, null, 0, v21, vcc_lo
	v_add_co_u32 v5, vcc_lo, v25, v69
	s_delay_alu instid0(VALU_DEP_1) | instskip(SKIP_1) | instid1(VALU_DEP_1)
	v_add_co_ci_u32_e64 v6, null, 0, v26, vcc_lo
	.loc	1 18 50                         ; attention_bwd.py:18:50
	v_add_co_u32 v18, vcc_lo, s6, v128
	v_add_co_ci_u32_e64 v21, null, s3, v129, vcc_lo
	v_add_co_u32 v46, vcc_lo, s6, v132
	.loc	1 18 17                         ; attention_bwd.py:18:17
	global_load_u16 v25, v[1:2], off
	.loc	1 13 54 is_stmt 1               ; attention_bwd.py:13:54
	v_or_b32_e32 v1, 60, v50
	.loc	1 18 50                         ; attention_bwd.py:18:50
	v_add_co_ci_u32_e64 v96, null, s3, v133, vcc_lo
	.loc	1 18 78 is_stmt 0               ; attention_bwd.py:18:78
	v_add_co_u32 v2, vcc_lo, v7, v69
	.loc	1 18 17                         ; attention_bwd.py:18:17
	s_clause 0x1
	global_load_u16 v26, v[3:4], off
	global_load_u16 v45, v[5:6], off
	.loc	1 18 78                         ; attention_bwd.py:18:78
	v_add_co_ci_u32_e64 v3, null, 0, v8, vcc_lo
	.loc	1 18 50                         ; attention_bwd.py:18:50
	v_add_co_u32 v8, vcc_lo, s6, v138
	s_delay_alu instid0(VALU_DEP_1) | instskip(SKIP_4) | instid1(VALU_DEP_3)
	v_add_co_ci_u32_e64 v98, null, s3, v139, vcc_lo
	.loc	1 18 78                         ; attention_bwd.py:18:78
	v_add_co_u32 v4, vcc_lo, v42, v69
	.loc	1 13 41 is_stmt 1               ; attention_bwd.py:13:41
	v_or_b32_e32 v42, s9, v1
	.loc	1 18 78                         ; attention_bwd.py:18:78
	v_add_co_ci_u32_e64 v5, null, 0, v43, vcc_lo
	v_add_co_u32 v6, vcc_lo, v18, v69
	.loc	1 17 65                         ; attention_bwd.py:17:65
	v_lshlrev_b32_e32 v42, 6, v42
	.loc	1 18 78                         ; attention_bwd.py:18:78
	v_add_co_ci_u32_e64 v7, null, 0, v21, vcc_lo
	v_add_co_u32 v95, vcc_lo, v46, v69
	s_delay_alu instid0(VALU_DEP_3)
	.loc	1 17 48                         ; attention_bwd.py:17:48
	v_ashrrev_i32_e32 v43, 31, v42
	.loc	1 18 78                         ; attention_bwd.py:18:78
	v_add_co_ci_u32_e64 v96, null, 0, v96, vcc_lo
	.loc	1 18 17 is_stmt 0               ; attention_bwd.py:18:17
	s_clause 0x3
	global_load_u16 v104, v[2:3], off
	global_load_u16 v46, v[4:5], off
	;; [unrolled: 1-line block ×4, first 2 shown]
	.loc	1 13 54 is_stmt 1               ; attention_bwd.py:13:54
	v_or_b32_e32 v2, 62, v50
	.loc	1 17 48                         ; attention_bwd.py:17:48
	v_lshlrev_b64 v[3:4], 1, v[42:43]
	.loc	1 18 78                         ; attention_bwd.py:18:78
	v_add_co_u32 v5, vcc_lo, v8, v69
	s_delay_alu instid0(VALU_DEP_1) | instskip(NEXT) | instid1(VALU_DEP_4)
	v_add_co_ci_u32_e64 v6, null, 0, v98, vcc_lo
	.loc	1 13 41                         ; attention_bwd.py:13:41
	v_or_b32_e32 v42, s9, v2
	s_delay_alu instid0(VALU_DEP_4) | instskip(NEXT) | instid1(VALU_DEP_1)
	.loc	1 18 50                         ; attention_bwd.py:18:50
	v_add_co_u32 v7, vcc_lo, s6, v3
	v_add_co_ci_u32_e64 v8, null, s3, v4, vcc_lo
	.loc	1 17 48                         ; attention_bwd.py:17:48
	v_add_co_u32 v43, vcc_lo, s4, v3
	.loc	1 13 54                         ; attention_bwd.py:13:54
	v_or_b32_e32 v3, 64, v50
	.loc	1 17 65                         ; attention_bwd.py:17:65
	v_lshlrev_b32_e32 v42, 6, v42
	.loc	1 17 48 is_stmt 0               ; attention_bwd.py:17:48
	v_add_co_ci_u32_e64 v4, null, s5, v4, vcc_lo
	.loc	1 18 78 is_stmt 1               ; attention_bwd.py:18:78
	v_add_co_u32 v7, vcc_lo, v7, v69
	s_delay_alu instid0(VALU_DEP_4)
	.loc	1 13 41                         ; attention_bwd.py:13:41
	v_or_b32_e32 v98, s9, v3
	.loc	1 18 78                         ; attention_bwd.py:18:78
	v_add_co_ci_u32_e64 v8, null, 0, v8, vcc_lo
	.loc	1 17 76                         ; attention_bwd.py:17:76
	v_add_co_u32 v95, vcc_lo, v43, v69
	.loc	1 17 48 is_stmt 0               ; attention_bwd.py:17:48
	v_ashrrev_i32_e32 v43, 31, v42
	.loc	1 18 17 is_stmt 1               ; attention_bwd.py:18:17
	s_clause 0x1
	global_load_u16 v105, v[5:6], off
	global_load_u16 v106, v[7:8], off
	.loc	1 17 65                         ; attention_bwd.py:17:65
	v_lshlrev_b32_e32 v6, 6, v98
	.loc	1 17 76 is_stmt 0               ; attention_bwd.py:17:76
	v_add_co_ci_u32_e64 v96, null, 0, v4, vcc_lo
	.loc	1 17 48                         ; attention_bwd.py:17:48
	v_lshlrev_b64 v[42:43], 1, v[42:43]
	.loc	1 13 54 is_stmt 1               ; attention_bwd.py:13:54
	v_or_b32_e32 v5, 0x42, v50
	s_delay_alu instid0(VALU_DEP_4)
	.loc	1 17 48                         ; attention_bwd.py:17:48
	v_ashrrev_i32_e32 v7, 31, v6
	.loc	1 17 16 is_stmt 0               ; attention_bwd.py:17:16
	global_load_u16 v107, v[95:96], off
	.loc	1 13 54 is_stmt 1               ; attention_bwd.py:13:54
	v_or_b32_e32 v4, 0x44, v50
	.loc	1 17 48                         ; attention_bwd.py:17:48
	v_add_co_u32 v8, vcc_lo, s4, v42
	v_lshlrev_b64 v[95:96], 1, v[6:7]
	v_add_co_ci_u32_e64 v98, null, s5, v43, vcc_lo
	s_delay_alu instid0(VALU_DEP_3) | instskip(SKIP_1) | instid1(VALU_DEP_3)
	.loc	1 17 76 is_stmt 0               ; attention_bwd.py:17:76
	v_add_co_u32 v7, vcc_lo, v8, v69
	.loc	1 13 41 is_stmt 1               ; attention_bwd.py:13:41
	v_or_b32_e32 v108, s9, v5
	.loc	1 17 76                         ; attention_bwd.py:17:76
	v_add_co_ci_u32_e64 v8, null, 0, v98, vcc_lo
	.loc	1 17 48 is_stmt 0               ; attention_bwd.py:17:48
	v_add_co_u32 v6, vcc_lo, s4, v95
	s_delay_alu instid0(VALU_DEP_1) | instskip(NEXT) | instid1(VALU_DEP_4)
	v_add_co_ci_u32_e64 v99, null, s5, v96, vcc_lo
	.loc	1 17 65                         ; attention_bwd.py:17:65
	v_lshlrev_b32_e32 v108, 6, v108
	s_delay_alu instid0(VALU_DEP_3) | instskip(NEXT) | instid1(VALU_DEP_1)
	.loc	1 17 76                         ; attention_bwd.py:17:76
	v_add_co_u32 v98, vcc_lo, v6, v69
	v_add_co_ci_u32_e64 v99, null, 0, v99, vcc_lo
	.loc	1 18 50 is_stmt 1               ; attention_bwd.py:18:50
	v_add_co_u32 v6, vcc_lo, s6, v42
	s_delay_alu instid0(VALU_DEP_1) | instskip(SKIP_1) | instid1(VALU_DEP_3)
	v_add_co_ci_u32_e64 v43, null, s3, v43, vcc_lo
	.loc	1 13 41                         ; attention_bwd.py:13:41
	v_or_b32_e32 v110, s9, v4
	.loc	1 18 78                         ; attention_bwd.py:18:78
	v_add_co_u32 v42, vcc_lo, v6, v69
	.loc	1 17 48                         ; attention_bwd.py:17:48
	v_ashrrev_i32_e32 v109, 31, v108
	s_delay_alu instid0(VALU_DEP_4)
	.loc	1 18 78                         ; attention_bwd.py:18:78
	v_add_co_ci_u32_e64 v43, null, 0, v43, vcc_lo
	.loc	1 13 54                         ; attention_bwd.py:13:54
	v_or_b32_e32 v6, 0x46, v50
	.loc	1 17 16                         ; attention_bwd.py:17:16
	global_load_u16 v126, v[7:8], off
	.loc	1 17 48 is_stmt 0               ; attention_bwd.py:17:48
	v_lshlrev_b64 v[108:109], 1, v[108:109]
	.loc	1 17 65                         ; attention_bwd.py:17:65
	v_lshlrev_b32_e32 v7, 6, v110
	.loc	1 18 17 is_stmt 1               ; attention_bwd.py:18:17
	global_load_u16 v127, v[42:43], off
	.loc	1 13 41                         ; attention_bwd.py:13:41
	v_or_b32_e32 v42, s9, v6
	.loc	1 17 48                         ; attention_bwd.py:17:48
	v_ashrrev_i32_e32 v8, 31, v7
	v_add_co_u32 v43, vcc_lo, s4, v108
	s_delay_alu instid0(VALU_DEP_3) | instskip(SKIP_1) | instid1(VALU_DEP_4)
	.loc	1 17 65 is_stmt 0               ; attention_bwd.py:17:65
	v_lshlrev_b32_e32 v42, 6, v42
	.loc	1 17 48                         ; attention_bwd.py:17:48
	v_add_co_ci_u32_e64 v111, null, s5, v109, vcc_lo
	v_lshlrev_b64 v[112:113], 1, v[7:8]
	.loc	1 13 54 is_stmt 1               ; attention_bwd.py:13:54
	v_or_b32_e32 v7, 0x48, v50
	.loc	1 17 76                         ; attention_bwd.py:17:76
	v_add_co_u32 v110, vcc_lo, v43, v69
	.loc	1 17 48 is_stmt 0               ; attention_bwd.py:17:48
	v_ashrrev_i32_e32 v43, 31, v42
	.loc	1 13 54 is_stmt 1               ; attention_bwd.py:13:54
	v_or_b32_e32 v8, 0x4a, v50
	s_delay_alu instid0(VALU_DEP_4) | instskip(SKIP_1) | instid1(VALU_DEP_4)
	.loc	1 13 41 is_stmt 0               ; attention_bwd.py:13:41
	v_or_b32_e32 v114, s9, v7
	.loc	1 17 76 is_stmt 1               ; attention_bwd.py:17:76
	v_add_co_ci_u32_e64 v111, null, 0, v111, vcc_lo
	.loc	1 17 48 is_stmt 0               ; attention_bwd.py:17:48
	v_lshlrev_b64 v[42:43], 1, v[42:43]
	s_delay_alu instid0(VALU_DEP_4)
	.loc	1 13 41 is_stmt 1               ; attention_bwd.py:13:41
	v_or_b32_e32 v118, s9, v8
	.loc	1 17 48                         ; attention_bwd.py:17:48
	v_add_co_u32 v116, vcc_lo, s4, v112
	.loc	1 17 65 is_stmt 0               ; attention_bwd.py:17:65
	v_lshlrev_b32_e32 v114, 6, v114
	.loc	1 17 48                         ; attention_bwd.py:17:48
	v_add_co_ci_u32_e64 v117, null, s5, v113, vcc_lo
	v_add_co_u32 v119, vcc_lo, s4, v42
	.loc	1 17 65                         ; attention_bwd.py:17:65
	v_lshlrev_b32_e32 v118, 6, v118
	.loc	1 17 48                         ; attention_bwd.py:17:48
	v_add_co_ci_u32_e64 v121, null, s5, v43, vcc_lo
	v_ashrrev_i32_e32 v115, 31, v114
	.loc	1 17 76                         ; attention_bwd.py:17:76
	v_add_co_u32 v116, vcc_lo, v116, v69
	s_delay_alu instid0(VALU_DEP_1)
	v_add_co_ci_u32_e64 v117, null, 0, v117, vcc_lo
	v_add_co_u32 v120, vcc_lo, v119, v69
	.loc	1 17 48                         ; attention_bwd.py:17:48
	v_ashrrev_i32_e32 v119, 31, v118
	v_lshlrev_b64 v[114:115], 1, v[114:115]
	.loc	1 17 76                         ; attention_bwd.py:17:76
	v_add_co_ci_u32_e64 v121, null, 0, v121, vcc_lo
	.loc	1 17 16                         ; attention_bwd.py:17:16
	s_clause 0x3
	global_load_u16 v128, v[98:99], off
	global_load_u16 v110, v[110:111], off
	;; [unrolled: 1-line block ×4, first 2 shown]
	.loc	1 17 48                         ; attention_bwd.py:17:48
	v_lshlrev_b64 v[118:119], 1, v[118:119]
	.loc	1 19 23 is_stmt 1               ; attention_bwd.py:19:23
	s_waitcnt vmcnt(59)
	v_cvt_f32_f16_e32 v120, v86
	.loc	1 17 48                         ; attention_bwd.py:17:48
	v_add_co_u32 v122, vcc_lo, s4, v114
	s_delay_alu instid0(VALU_DEP_1) | instskip(NEXT) | instid1(VALU_DEP_4)
	v_add_co_ci_u32_e64 v123, null, s5, v115, vcc_lo
	v_add_co_u32 v124, s2, s4, v118
	s_delay_alu instid0(VALU_DEP_1) | instskip(NEXT) | instid1(VALU_DEP_4)
	v_add_co_ci_u32_e64 v125, null, s5, v119, s2
	.loc	1 17 76 is_stmt 0               ; attention_bwd.py:17:76
	v_add_co_u32 v122, vcc_lo, v122, v69
	s_delay_alu instid0(VALU_DEP_1) | instskip(NEXT) | instid1(VALU_DEP_4)
	v_add_co_ci_u32_e64 v123, null, 0, v123, vcc_lo
	v_add_co_u32 v124, vcc_lo, v124, v69
	s_delay_alu instid0(VALU_DEP_1) | instskip(SKIP_1) | instid1(VALU_DEP_1)
	v_add_co_ci_u32_e64 v125, null, 0, v125, vcc_lo
	.loc	1 18 50 is_stmt 1               ; attention_bwd.py:18:50
	v_add_co_u32 v95, vcc_lo, s6, v95
	v_add_co_ci_u32_e64 v96, null, s3, v96, vcc_lo
	v_add_co_u32 v98, vcc_lo, s6, v108
	s_delay_alu instid0(VALU_DEP_1) | instskip(SKIP_1) | instid1(VALU_DEP_1)
	v_add_co_ci_u32_e64 v99, null, s3, v109, vcc_lo
	v_add_co_u32 v108, vcc_lo, s6, v112
	v_add_co_ci_u32_e64 v109, null, s3, v113, vcc_lo
	v_add_co_u32 v112, vcc_lo, s6, v42
	s_delay_alu instid0(VALU_DEP_1) | instskip(SKIP_1) | instid1(VALU_DEP_1)
	v_add_co_ci_u32_e64 v113, null, s3, v43, vcc_lo
	.loc	1 18 78 is_stmt 0               ; attention_bwd.py:18:78
	v_add_co_u32 v42, vcc_lo, v95, v69
	v_add_co_ci_u32_e64 v43, null, 0, v96, vcc_lo
	v_add_co_u32 v95, vcc_lo, v98, v69
	s_delay_alu instid0(VALU_DEP_1) | instskip(SKIP_1) | instid1(VALU_DEP_1)
	v_add_co_ci_u32_e64 v96, null, 0, v99, vcc_lo
	.loc	1 18 50                         ; attention_bwd.py:18:50
	v_add_co_u32 v98, vcc_lo, s6, v114
	v_add_co_ci_u32_e64 v99, null, s3, v115, vcc_lo
	.loc	1 18 17                         ; attention_bwd.py:18:17
	s_clause 0x1
	global_load_u16 v114, v[42:43], off
	global_load_u16 v115, v[95:96], off
	.loc	1 18 78                         ; attention_bwd.py:18:78
	v_add_co_u32 v42, vcc_lo, v108, v69
	s_delay_alu instid0(VALU_DEP_1) | instskip(SKIP_1) | instid1(VALU_DEP_1)
	v_add_co_ci_u32_e64 v43, null, 0, v109, vcc_lo
	v_add_co_u32 v95, s2, v112, v69
	v_add_co_ci_u32_e64 v96, null, 0, v113, s2
	.loc	1 18 17                         ; attention_bwd.py:18:17
	global_load_u16 v109, v[42:43], off
	.loc	1 18 50                         ; attention_bwd.py:18:50
	v_add_co_u32 v108, vcc_lo, s6, v118
	s_delay_alu instid0(VALU_DEP_1) | instskip(SKIP_2) | instid1(VALU_DEP_1)
	v_add_co_ci_u32_e64 v112, null, s3, v119, vcc_lo
	.loc	1 18 17                         ; attention_bwd.py:18:17
	global_load_u16 v113, v[95:96], off
	.loc	1 18 78                         ; attention_bwd.py:18:78
	v_add_co_u32 v42, vcc_lo, v98, v69
	v_add_co_ci_u32_e64 v43, null, 0, v99, vcc_lo
	v_add_co_u32 v95, vcc_lo, v108, v69
	s_delay_alu instid0(VALU_DEP_1)
	v_add_co_ci_u32_e64 v96, null, 0, v112, vcc_lo
	.loc	1 18 17                         ; attention_bwd.py:18:17
	global_load_u16 v108, v[42:43], off
	.loc	1 17 16 is_stmt 1               ; attention_bwd.py:17:16
	global_load_u16 v112, v[122:123], off
	.loc	1 18 17                         ; attention_bwd.py:18:17
	global_load_u16 v117, v[95:96], off
	.loc	1 17 16                         ; attention_bwd.py:17:16
	;; [unrolled: 2-line block ×3, first 2 shown]
	v_cvt_f32_f16_e32 v42, v79
	.loc	1 18 97                         ; attention_bwd.py:18:97
	v_cvt_f32_f16_e32 v43, v80
	v_cvt_f32_f16_e32 v95, v84
	.loc	1 19 23                         ; attention_bwd.py:19:23
	v_cvt_f32_f16_e32 v96, v78
	v_cvt_f32_f16_e32 v98, v83
	.loc	1 18 97                         ; attention_bwd.py:18:97
	s_waitcnt vmcnt(62)
	v_cvt_f32_f16_e32 v119, v91
	.loc	1 19 23                         ; attention_bwd.py:19:23
	v_mul_f32_e32 v42, v42, v43
	.loc	1 18 97                         ; attention_bwd.py:18:97
	v_cvt_f32_f16_e32 v43, v85
	.loc	1 19 23                         ; attention_bwd.py:19:23
	v_mul_f32_e32 v95, v96, v95
	.loc	1 18 97                         ; attention_bwd.py:18:97
	v_cvt_f32_f16_e32 v96, v81
	s_delay_alu instid0(VALU_DEP_4) | instskip(NEXT) | instid1(VALU_DEP_4)
.Ltmp1:
	.file	2 "/root/.local/lib/python3.13/site-packages/triton/language" "standard.py"
	.loc	2 293 36                        ; standard.py:293:36 @[ attention_bwd.py:19:19 ]
	v_mov_b32_dpp v42, v42 row_shr:8 row_mask:0xf bank_mask:0xf bound_ctrl:1
.Ltmp2:
	.loc	1 19 23                         ; attention_bwd.py:19:23
	v_mul_f32_e32 v43, v98, v43
	v_cvt_f32_f16_e32 v98, v82
.Ltmp3:
	.loc	2 293 36                        ; standard.py:293:36 @[ attention_bwd.py:19:19 ]
	v_mov_b32_dpp v95, v95 row_shr:8 row_mask:0xf bank_mask:0xf bound_ctrl:1
	s_delay_alu instid0(VALU_DEP_4) | instskip(NEXT) | instid1(VALU_DEP_4)
.Ltmp4:
	.loc	2 263 15                        ; standard.py:263:15 @[ standard.py:293:36 @[ attention_bwd.py:19:19 ] ]
	v_fma_mix_f32 v99, v79, v80, v42 op_sel_hi:[1,1,0]
.Ltmp5:
	.loc	2 293 36                        ; standard.py:293:36 @[ attention_bwd.py:19:19 ]
	v_mov_b32_dpp v42, v43 row_shr:8 row_mask:0xf bank_mask:0xf bound_ctrl:1
	s_delay_alu instid0(VALU_DEP_4)
.Ltmp6:
	.loc	1 19 23                         ; attention_bwd.py:19:23
	v_mul_f32_e32 v43, v98, v96
	v_mul_f32_e32 v79, v120, v119
	.loc	1 18 97                         ; attention_bwd.py:18:97
	v_cvt_f32_f16_e32 v80, v90
	.loc	1 19 23                         ; attention_bwd.py:19:23
	v_cvt_f32_f16_e32 v119, v87
.Ltmp7:
	.loc	2 263 15                        ; standard.py:263:15 @[ standard.py:293:36 @[ attention_bwd.py:19:19 ] ]
	v_fma_mix_f32 v98, v78, v84, v95 op_sel_hi:[1,1,0]
	v_fma_mix_f32 v96, v83, v85, v42 op_sel_hi:[1,1,0]
.Ltmp8:
	.loc	2 293 36                        ; standard.py:293:36 @[ attention_bwd.py:19:19 ]
	v_mov_b32_dpp v42, v43 row_shr:8 row_mask:0xf bank_mask:0xf bound_ctrl:1
	v_mov_b32_dpp v43, v79 row_shr:8 row_mask:0xf bank_mask:0xf bound_ctrl:1
.Ltmp9:
	.loc	1 19 23                         ; attention_bwd.py:19:23
	v_mul_f32_e32 v78, v119, v80
	.loc	1 18 97                         ; attention_bwd.py:18:97
	s_waitcnt vmcnt(61)
	v_cvt_f32_f16_e32 v79, v92
	.loc	1 19 23                         ; attention_bwd.py:19:23
	v_cvt_f32_f16_e32 v80, v88
	.loc	1 18 97                         ; attention_bwd.py:18:97
	s_waitcnt vmcnt(60)
	v_cvt_f32_f16_e32 v83, v93
	.loc	1 19 23                         ; attention_bwd.py:19:23
	v_cvt_f32_f16_e32 v84, v89
.Ltmp10:
	.loc	2 263 15                        ; standard.py:263:15 @[ standard.py:293:36 @[ attention_bwd.py:19:19 ] ]
	v_fma_mix_f32 v95, v82, v81, v42 op_sel_hi:[1,1,0]
	v_fma_mix_f32 v91, v86, v91, v43 op_sel_hi:[1,1,0]
.Ltmp11:
	.loc	2 293 36                        ; standard.py:293:36 @[ attention_bwd.py:19:19 ]
	v_mov_b32_dpp v42, v78 row_shr:8 row_mask:0xf bank_mask:0xf bound_ctrl:1
.Ltmp12:
	.loc	1 19 23                         ; attention_bwd.py:19:23
	v_mul_f32_e32 v43, v80, v79
	v_mul_f32_e32 v78, v84, v83
	.loc	1 18 97                         ; attention_bwd.py:18:97
	s_waitcnt vmcnt(37)
	v_cvt_f32_f16_e32 v79, v15
	.loc	1 19 23                         ; attention_bwd.py:19:23
	v_cvt_f32_f16_e32 v80, v103
.Ltmp13:
	.loc	2 263 15                        ; standard.py:263:15 @[ standard.py:293:36 @[ attention_bwd.py:19:19 ] ]
	v_fma_mix_f32 v90, v87, v90, v42 op_sel_hi:[1,1,0]
.Ltmp14:
	.loc	2 293 36                        ; standard.py:293:36 @[ attention_bwd.py:19:19 ]
	v_mov_b32_dpp v42, v43 row_shr:8 row_mask:0xf bank_mask:0xf bound_ctrl:1
	v_mov_b32_dpp v43, v78 row_shr:8 row_mask:0xf bank_mask:0xf bound_ctrl:1
.Ltmp15:
	.loc	1 18 97                         ; attention_bwd.py:18:97
	s_waitcnt vmcnt(36)
	v_cvt_f32_f16_e32 v78, v9
	.loc	1 19 23                         ; attention_bwd.py:19:23
	v_mul_f32_e32 v79, v80, v79
	v_cvt_f32_f16_e32 v80, v101
	.loc	1 18 97                         ; attention_bwd.py:18:97
	s_waitcnt vmcnt(35)
	v_cvt_f32_f16_e32 v81, v16
	.loc	1 19 23                         ; attention_bwd.py:19:23
	v_cvt_f32_f16_e32 v82, v102
.Ltmp16:
	.loc	2 263 15                        ; standard.py:263:15 @[ standard.py:293:36 @[ attention_bwd.py:19:19 ] ]
	v_fma_mix_f32 v87, v88, v92, v42 op_sel_hi:[1,1,0]
	v_fma_mix_f32 v85, v89, v93, v43 op_sel_hi:[1,1,0]
.Ltmp17:
	.loc	1 19 23                         ; attention_bwd.py:19:23
	v_mul_f32_e32 v42, v80, v78
.Ltmp18:
	.loc	2 293 36                        ; standard.py:293:36 @[ attention_bwd.py:19:19 ]
	v_mov_b32_dpp v43, v79 row_shr:8 row_mask:0xf bank_mask:0xf bound_ctrl:1
.Ltmp19:
	.loc	1 19 23                         ; attention_bwd.py:19:23
	v_mul_f32_e32 v78, v82, v81
	.loc	1 18 97                         ; attention_bwd.py:18:97
	s_waitcnt vmcnt(34)
	v_cvt_f32_f16_e32 v79, v19
	.loc	1 19 23                         ; attention_bwd.py:19:23
	v_cvt_f32_f16_e32 v80, v100
.Ltmp20:
	.loc	2 293 36                        ; standard.py:293:36 @[ attention_bwd.py:19:19 ]
	v_mov_b32_dpp v42, v42 row_shr:8 row_mask:0xf bank_mask:0xf bound_ctrl:1
.Ltmp21:
	.loc	2 263 15                        ; standard.py:263:15 @[ standard.py:293:36 @[ attention_bwd.py:19:19 ] ]
	v_fma_mix_f32 v83, v103, v15, v43 op_sel_hi:[1,1,0]
.Ltmp22:
	.loc	1 18 97                         ; attention_bwd.py:18:97
	s_waitcnt vmcnt(33)
	v_cvt_f32_f16_e32 v15, v10
	.loc	1 19 23                         ; attention_bwd.py:19:23
	v_cvt_f32_f16_e32 v43, v94
	v_mul_f32_e32 v79, v80, v79
.Ltmp23:
	.loc	2 293 36                        ; standard.py:293:36 @[ attention_bwd.py:19:19 ]
	v_mov_b32_dpp v78, v78 row_shr:8 row_mask:0xf bank_mask:0xf bound_ctrl:1
.Ltmp24:
	.loc	1 18 97                         ; attention_bwd.py:18:97
	s_waitcnt vmcnt(32)
	v_cvt_f32_f16_e32 v80, v11
	.loc	1 19 23                         ; attention_bwd.py:19:23
	v_cvt_f32_f16_e32 v81, v97
	v_mul_f32_e32 v15, v43, v15
.Ltmp25:
	.loc	2 293 36                        ; standard.py:293:36 @[ attention_bwd.py:19:19 ]
	v_mov_b32_dpp v43, v79 row_shr:8 row_mask:0xf bank_mask:0xf bound_ctrl:1
.Ltmp26:
	.loc	2 263 15                        ; standard.py:263:15 @[ standard.py:293:36 @[ attention_bwd.py:19:19 ] ]
	v_fma_mix_f32 v84, v101, v9, v42 op_sel_hi:[1,1,0]
	v_fma_mix_f32 v82, v102, v16, v78 op_sel_hi:[1,1,0]
.Ltmp27:
	.loc	1 19 23                         ; attention_bwd.py:19:23
	v_mul_f32_e32 v9, v81, v80
	.loc	1 18 97                         ; attention_bwd.py:18:97
	s_waitcnt vmcnt(31)
	v_cvt_f32_f16_e32 v16, v17
	.loc	1 19 23                         ; attention_bwd.py:19:23
	v_cvt_f32_f16_e32 v42, v40
.Ltmp28:
	.loc	2 293 36                        ; standard.py:293:36 @[ attention_bwd.py:19:19 ]
	v_mov_b32_dpp v15, v15 row_shr:8 row_mask:0xf bank_mask:0xf bound_ctrl:1
.Ltmp29:
	.loc	2 263 15                        ; standard.py:263:15 @[ standard.py:293:36 @[ attention_bwd.py:19:19 ] ]
	v_fma_mix_f32 v79, v100, v19, v43 op_sel_hi:[1,1,0]
.Ltmp30:
	.loc	1 18 97                         ; attention_bwd.py:18:97
	s_waitcnt vmcnt(30)
	v_cvt_f32_f16_e32 v19, v12
	.loc	1 19 23                         ; attention_bwd.py:19:23
	v_cvt_f32_f16_e32 v43, v37
.Ltmp31:
	.loc	2 293 36                        ; standard.py:293:36 @[ attention_bwd.py:19:19 ]
	v_mov_b32_dpp v9, v9 row_shr:8 row_mask:0xf bank_mask:0xf bound_ctrl:1
.Ltmp32:
	.loc	1 18 97                         ; attention_bwd.py:18:97
	s_waitcnt vmcnt(29)
	v_cvt_f32_f16_e32 v78, v13
	.loc	1 19 23                         ; attention_bwd.py:19:23
	v_cvt_f32_f16_e32 v81, v39
	v_dual_mul_f32 v16, v42, v16 :: v_dual_mul_f32 v19, v43, v19
.Ltmp33:
	.loc	2 263 15                        ; standard.py:263:15 @[ standard.py:293:36 @[ attention_bwd.py:19:19 ] ]
	v_fma_mix_f32 v80, v94, v10, v15 op_sel_hi:[1,1,0]
	v_fma_mix_f32 v42, v97, v11, v9 op_sel_hi:[1,1,0]
	s_delay_alu instid0(VALU_DEP_4) | instskip(NEXT) | instid1(VALU_DEP_4)
.Ltmp34:
	.loc	1 19 23                         ; attention_bwd.py:19:23
	v_mul_f32_e32 v9, v81, v78
.Ltmp35:
	.loc	2 293 36                        ; standard.py:293:36 @[ attention_bwd.py:19:19 ]
	v_mov_b32_dpp v10, v16 row_shr:8 row_mask:0xf bank_mask:0xf bound_ctrl:1
.Ltmp36:
	.loc	1 18 97                         ; attention_bwd.py:18:97
	s_waitcnt vmcnt(28)
	v_cvt_f32_f16_e32 v15, v14
	.loc	1 19 23                         ; attention_bwd.py:19:23
	v_cvt_f32_f16_e32 v16, v36
	.loc	1 18 97                         ; attention_bwd.py:18:97
	s_waitcnt vmcnt(26)
	v_cvt_f32_f16_e32 v81, v23
	.loc	1 19 23                         ; attention_bwd.py:19:23
	v_cvt_f32_f16_e32 v86, v34
.Ltmp37:
	.loc	2 293 36                        ; standard.py:293:36 @[ attention_bwd.py:19:19 ]
	v_mov_b32_dpp v11, v19 row_shr:8 row_mask:0xf bank_mask:0xf bound_ctrl:1
.Ltmp38:
	.loc	1 18 97                         ; attention_bwd.py:18:97
	v_cvt_f32_f16_e32 v19, v20
	.loc	1 19 23                         ; attention_bwd.py:19:23
	v_cvt_f32_f16_e32 v78, v38
.Ltmp39:
	.loc	2 263 15                        ; standard.py:263:15 @[ standard.py:293:36 @[ attention_bwd.py:19:19 ] ]
	v_fma_mix_f32 v43, v40, v17, v10 op_sel_hi:[1,1,0]
.Ltmp40:
	.loc	2 293 36                        ; standard.py:293:36 @[ attention_bwd.py:19:19 ]
	v_mov_b32_dpp v9, v9 row_shr:8 row_mask:0xf bank_mask:0xf bound_ctrl:1
.Ltmp41:
	.loc	1 19 23                         ; attention_bwd.py:19:23
	v_mul_f32_e32 v10, v16, v15
	v_mul_f32_e32 v16, v86, v81
	;; [unrolled: 1-line block ×3, first 2 shown]
.Ltmp42:
	.loc	2 263 15                        ; standard.py:263:15 @[ standard.py:293:36 @[ attention_bwd.py:19:19 ] ]
	v_fma_mix_f32 v40, v37, v12, v11 op_sel_hi:[1,1,0]
	v_fma_mix_f32 v37, v39, v13, v9 op_sel_hi:[1,1,0]
.Ltmp43:
	.loc	2 293 36                        ; standard.py:293:36 @[ attention_bwd.py:19:19 ]
	v_mov_b32_dpp v9, v10 row_shr:8 row_mask:0xf bank_mask:0xf bound_ctrl:1
	v_mov_b32_dpp v11, v16 row_shr:8 row_mask:0xf bank_mask:0xf bound_ctrl:1
.Ltmp44:
	.loc	1 18 97                         ; attention_bwd.py:18:97
	s_waitcnt vmcnt(25)
	v_cvt_f32_f16_e32 v12, v22
	.loc	1 19 23                         ; attention_bwd.py:19:23
	v_cvt_f32_f16_e32 v13, v31
.Ltmp45:
	.loc	2 293 36                        ; standard.py:293:36 @[ attention_bwd.py:19:19 ]
	v_mov_b32_dpp v10, v15 row_shr:8 row_mask:0xf bank_mask:0xf bound_ctrl:1
.Ltmp46:
	.loc	1 18 97                         ; attention_bwd.py:18:97
	s_waitcnt vmcnt(24)
	v_cvt_f32_f16_e32 v15, v24
	.loc	1 19 23                         ; attention_bwd.py:19:23
	v_cvt_f32_f16_e32 v16, v30
.Ltmp47:
	.loc	2 263 15                        ; standard.py:263:15 @[ standard.py:293:36 @[ attention_bwd.py:19:19 ] ]
	v_fma_mix_f32 v39, v36, v14, v9 op_sel_hi:[1,1,0]
.Ltmp48:
	.loc	1 19 23                         ; attention_bwd.py:19:23
	v_mul_f32_e32 v9, v13, v12
.Ltmp49:
	.loc	2 263 15                        ; standard.py:263:15 @[ standard.py:293:36 @[ attention_bwd.py:19:19 ] ]
	v_fma_mix_f32 v34, v34, v23, v11 op_sel_hi:[1,1,0]
.Ltmp50:
	.loc	1 19 23                         ; attention_bwd.py:19:23
	v_cvt_f32_f16_e32 v12, v29
.Ltmp51:
	.loc	2 263 15                        ; standard.py:263:15 @[ standard.py:293:36 @[ attention_bwd.py:19:19 ] ]
	v_fma_mix_f32 v36, v38, v20, v10 op_sel_hi:[1,1,0]
.Ltmp52:
	.loc	1 19 23                         ; attention_bwd.py:19:23
	v_mul_f32_e32 v10, v16, v15
.Ltmp53:
	.loc	2 293 36                        ; standard.py:293:36 @[ attention_bwd.py:19:19 ]
	v_mov_b32_dpp v9, v9 row_shr:8 row_mask:0xf bank_mask:0xf bound_ctrl:1
.Ltmp54:
	.loc	1 18 97                         ; attention_bwd.py:18:97
	s_waitcnt vmcnt(23)
	v_cvt_f32_f16_e32 v11, v25
	.loc	1 19 23                         ; attention_bwd.py:19:23
	v_cvt_f32_f16_e32 v14, v28
.Ltmp55:
	.loc	2 263 15                        ; standard.py:263:15 @[ standard.py:293:36 @[ attention_bwd.py:19:19 ] ]
	v_add_f32_dpp v98, v98, v98 row_shr:4 row_mask:0xf bank_mask:0xf bound_ctrl:1
.Ltmp56:
	.loc	2 293 36                        ; standard.py:293:36 @[ attention_bwd.py:19:19 ]
	v_mov_b32_dpp v10, v10 row_shr:8 row_mask:0xf bank_mask:0xf bound_ctrl:1
.Ltmp57:
	.loc	2 263 15                        ; standard.py:263:15 @[ standard.py:293:36 @[ attention_bwd.py:19:19 ] ]
	v_fma_mix_f32 v38, v31, v22, v9 op_sel_hi:[1,1,0]
.Ltmp58:
	.loc	1 18 97                         ; attention_bwd.py:18:97
	s_waitcnt vmcnt(22)
	v_cvt_f32_f16_e32 v13, v26
	s_waitcnt vmcnt(21)
	v_cvt_f32_f16_e32 v15, v45
	.loc	1 19 23                         ; attention_bwd.py:19:23
	v_mul_f32_e32 v11, v12, v11
	v_cvt_f32_f16_e32 v12, v44
.Ltmp59:
	.loc	2 263 15                        ; standard.py:263:15 @[ standard.py:293:36 @[ attention_bwd.py:19:19 ] ]
	v_fma_mix_f32 v31, v30, v24, v10 op_sel_hi:[1,1,0]
.Ltmp60:
	.loc	1 19 23                         ; attention_bwd.py:19:23
	v_mul_f32_e32 v9, v14, v13
	v_cvt_f32_f16_e32 v14, v32
.Ltmp61:
	.loc	2 293 36                        ; standard.py:293:36 @[ attention_bwd.py:19:19 ]
	v_mov_b32_dpp v11, v11 row_shr:8 row_mask:0xf bank_mask:0xf bound_ctrl:1
.Ltmp62:
	.loc	1 19 23                         ; attention_bwd.py:19:23
	v_mul_f32_e32 v12, v12, v15
	v_cvt_f32_f16_e32 v15, v33
.Ltmp63:
	.loc	2 293 36                        ; standard.py:293:36 @[ attention_bwd.py:19:19 ]
	v_mov_b32_dpp v9, v9 row_shr:8 row_mask:0xf bank_mask:0xf bound_ctrl:1
.Ltmp64:
	.loc	2 263 15                        ; standard.py:263:15 @[ standard.py:293:36 @[ attention_bwd.py:19:19 ] ]
	v_add_f32_dpp v98, v98, v98 row_shr:2 row_mask:0xf bank_mask:0xf bound_ctrl:1
	v_fma_mix_f32 v29, v29, v25, v11 op_sel_hi:[1,1,0]
.Ltmp65:
	.loc	2 293 36                        ; standard.py:293:36 @[ attention_bwd.py:19:19 ]
	v_mov_b32_dpp v10, v12 row_shr:8 row_mask:0xf bank_mask:0xf bound_ctrl:1
.Ltmp66:
	.loc	2 263 15                        ; standard.py:263:15 @[ standard.py:293:36 @[ attention_bwd.py:19:19 ] ]
	v_add_f32_dpp v96, v96, v96 row_shr:4 row_mask:0xf bank_mask:0xf bound_ctrl:1
	v_fma_mix_f32 v30, v28, v26, v9 op_sel_hi:[1,1,0]
.Ltmp67:
	.loc	1 13 54                         ; attention_bwd.py:13:54
	v_or_b32_e32 v9, 0x4c, v50
.Ltmp68:
	.loc	2 263 15                        ; standard.py:263:15 @[ standard.py:293:36 @[ attention_bwd.py:19:19 ] ]
	v_add_f32_dpp v98, v98, v98 row_shr:1 row_mask:0xf bank_mask:0xf bound_ctrl:1
	v_fma_mix_f32 v28, v44, v45, v10 op_sel_hi:[1,1,0]
	v_add_f32_dpp v96, v96, v96 row_shr:2 row_mask:0xf bank_mask:0xf bound_ctrl:1
.Ltmp69:
	.loc	1 18 97                         ; attention_bwd.py:18:97
	s_waitcnt vmcnt(20)
	v_cvt_f32_f16_e32 v13, v104
	s_waitcnt vmcnt(19)
	v_cvt_f32_f16_e32 v12, v46
.Ltmp70:
	.loc	2 263 15                        ; standard.py:263:15 @[ standard.py:293:36 @[ attention_bwd.py:19:19 ] ]
	v_add_f32_dpp v90, v90, v90 row_shr:4 row_mask:0xf bank_mask:0xf bound_ctrl:1
	v_add_f32_dpp v36, v36, v36 row_shr:4 row_mask:0xf bank_mask:0xf bound_ctrl:1
	;; [unrolled: 1-line block ×3, first 2 shown]
.Ltmp71:
	.loc	1 19 23                         ; attention_bwd.py:19:23
	v_mul_f32_e32 v11, v14, v13
	v_cvt_f32_f16_e32 v13, v27
	.loc	1 18 97                         ; attention_bwd.py:18:97
	s_waitcnt vmcnt(17)
	v_cvt_f32_f16_e32 v14, v21
.Ltmp72:
	.loc	2 263 15                        ; standard.py:263:15 @[ standard.py:293:36 @[ attention_bwd.py:19:19 ] ]
	v_add_f32_dpp v90, v90, v90 row_shr:2 row_mask:0xf bank_mask:0xf bound_ctrl:1
	v_add_f32_dpp v36, v36, v36 row_shr:2 row_mask:0xf bank_mask:0xf bound_ctrl:1
.Ltmp73:
	.loc	2 293 36                        ; standard.py:293:36 @[ attention_bwd.py:19:19 ]
	v_mov_b32_dpp v10, v11 row_shr:8 row_mask:0xf bank_mask:0xf bound_ctrl:1
.Ltmp74:
	.loc	1 18 97                         ; attention_bwd.py:18:97
	v_cvt_f32_f16_e32 v11, v18
	.loc	1 19 23                         ; attention_bwd.py:19:23
	v_mul_f32_e32 v12, v13, v12
	v_cvt_f32_f16_e32 v13, v35
.Ltmp75:
	.loc	2 263 15                        ; standard.py:263:15 @[ standard.py:293:36 @[ attention_bwd.py:19:19 ] ]
	v_add_f32_dpp v90, v90, v90 row_shr:1 row_mask:0xf bank_mask:0xf bound_ctrl:1
	v_fma_mix_f32 v32, v32, v104, v10 op_sel_hi:[1,1,0]
.Ltmp76:
	.loc	1 13 41                         ; attention_bwd.py:13:41
	v_or_b32_e32 v10, s9, v9
.Ltmp77:
	.loc	2 293 36                        ; standard.py:293:36 @[ attention_bwd.py:19:19 ]
	v_mov_b32_dpp v12, v12 row_shr:8 row_mask:0xf bank_mask:0xf bound_ctrl:1
.Ltmp78:
	.loc	1 19 23                         ; attention_bwd.py:19:23
	v_mul_f32_e32 v11, v13, v11
	v_mul_f32_e32 v13, v15, v14
	v_cvt_f32_f16_e32 v14, v41
	.loc	1 17 65                         ; attention_bwd.py:17:65
	v_lshlrev_b32_e32 v10, 6, v10
.Ltmp79:
	.loc	2 263 15                        ; standard.py:263:15 @[ standard.py:293:36 @[ attention_bwd.py:19:19 ] ]
	v_fma_mix_f32 v27, v27, v46, v12 op_sel_hi:[1,1,0]
.Ltmp80:
	.loc	2 293 36                        ; standard.py:293:36 @[ attention_bwd.py:19:19 ]
	v_mov_b32_dpp v17, v11 row_shr:8 row_mask:0xf bank_mask:0xf bound_ctrl:1
	v_mov_b32_dpp v13, v13 row_shr:8 row_mask:0xf bank_mask:0xf bound_ctrl:1
.Ltmp81:
	.loc	2 263 15                        ; standard.py:263:15 @[ standard.py:293:36 @[ attention_bwd.py:19:19 ] ]
	v_add_f32_dpp v36, v36, v36 row_shr:1 row_mask:0xf bank_mask:0xf bound_ctrl:1
.Ltmp82:
	.loc	1 17 48                         ; attention_bwd.py:17:48
	v_ashrrev_i32_e32 v11, 31, v10
.Ltmp83:
	.loc	2 263 15                        ; standard.py:263:15 @[ standard.py:293:36 @[ attention_bwd.py:19:19 ] ]
	v_add_f32_dpp v84, v84, v84 row_shr:4 row_mask:0xf bank_mask:0xf bound_ctrl:1
.Ltmp84:
	.loc	1 18 97                         ; attention_bwd.py:18:97
	s_waitcnt vmcnt(16)
	v_cvt_f32_f16_e32 v12, v105
	s_waitcnt vmcnt(15)
	v_cvt_f32_f16_e32 v15, v106
.Ltmp85:
	.loc	2 263 15                        ; standard.py:263:15 @[ standard.py:293:36 @[ attention_bwd.py:19:19 ] ]
	v_fma_mix_f32 v35, v35, v18, v17 op_sel_hi:[1,1,0]
	v_fma_mix_f32 v33, v33, v21, v13 op_sel_hi:[1,1,0]
	v_add_f32_dpp v84, v84, v84 row_shr:2 row_mask:0xf bank_mask:0xf bound_ctrl:1
.Ltmp86:
	.loc	1 19 23                         ; attention_bwd.py:19:23
	v_mul_f32_e32 v14, v14, v12
	.loc	1 17 48                         ; attention_bwd.py:17:48
	v_lshlrev_b64 v[11:12], 1, v[10:11]
	.loc	1 13 54                         ; attention_bwd.py:13:54
	v_or_b32_e32 v10, 0x4e, v50
	.loc	1 19 23                         ; attention_bwd.py:19:23
	s_waitcnt vmcnt(14)
	v_cvt_f32_f16_e32 v16, v107
.Ltmp87:
	.loc	2 263 15                        ; standard.py:263:15 @[ standard.py:293:36 @[ attention_bwd.py:19:19 ] ]
	v_add_f32_dpp v84, v84, v84 row_shr:1 row_mask:0xf bank_mask:0xf bound_ctrl:1
.Ltmp88:
	.loc	2 293 36                        ; standard.py:293:36 @[ attention_bwd.py:19:19 ]
	v_mov_b32_dpp v17, v14 row_shr:8 row_mask:0xf bank_mask:0xf bound_ctrl:1
.Ltmp89:
	.loc	2 263 15                        ; standard.py:263:15 @[ standard.py:293:36 @[ attention_bwd.py:19:19 ] ]
	v_add_f32_dpp v82, v82, v82 row_shr:4 row_mask:0xf bank_mask:0xf bound_ctrl:1
.Ltmp90:
	.loc	1 17 48                         ; attention_bwd.py:17:48
	v_add_co_u32 v13, vcc_lo, s4, v11
	.loc	1 19 23                         ; attention_bwd.py:19:23
	v_mul_f32_e32 v15, v16, v15
	.loc	1 17 48                         ; attention_bwd.py:17:48
	v_add_co_ci_u32_e64 v14, null, s5, v12, vcc_lo
	s_delay_alu instid0(VALU_DEP_3) | instskip(NEXT) | instid1(VALU_DEP_3)
	.loc	1 17 76 is_stmt 0               ; attention_bwd.py:17:76
	v_add_co_u32 v13, vcc_lo, v13, v69
.Ltmp91:
	.loc	2 293 36 is_stmt 1              ; standard.py:293:36 @[ attention_bwd.py:19:19 ]
	v_mov_b32_dpp v18, v15 row_shr:8 row_mask:0xf bank_mask:0xf bound_ctrl:1
.Ltmp92:
	.loc	1 13 41                         ; attention_bwd.py:13:41
	v_or_b32_e32 v15, s9, v10
	s_delay_alu instid0(VALU_DEP_4) | instskip(SKIP_1) | instid1(VALU_DEP_3)
	.loc	1 17 76                         ; attention_bwd.py:17:76
	v_add_co_ci_u32_e64 v14, null, 0, v14, vcc_lo
	.loc	1 18 50                         ; attention_bwd.py:18:50
	v_add_co_u32 v11, vcc_lo, s6, v11
	.loc	1 17 65                         ; attention_bwd.py:17:65
	v_lshlrev_b32_e32 v15, 6, v15
	.loc	1 18 50                         ; attention_bwd.py:18:50
	v_add_co_ci_u32_e64 v12, null, s3, v12, vcc_lo
	s_delay_alu instid0(VALU_DEP_3) | instskip(NEXT) | instid1(VALU_DEP_3)
	.loc	1 18 78 is_stmt 0               ; attention_bwd.py:18:78
	v_add_co_u32 v11, vcc_lo, v11, v69
	.loc	1 17 48 is_stmt 1               ; attention_bwd.py:17:48
	v_ashrrev_i32_e32 v16, 31, v15
	s_delay_alu instid0(VALU_DEP_3)
	.loc	1 18 78                         ; attention_bwd.py:18:78
	v_add_co_ci_u32_e64 v12, null, 0, v12, vcc_lo
	.loc	1 17 16                         ; attention_bwd.py:17:16
	global_load_u16 v78, v[13:14], off
	.loc	1 18 17                         ; attention_bwd.py:18:17
	global_load_u16 v81, v[11:12], off
	.loc	1 17 48                         ; attention_bwd.py:17:48
	v_lshlrev_b64 v[15:16], 1, v[15:16]
.Ltmp93:
	.loc	2 263 15                        ; standard.py:263:15 @[ standard.py:293:36 @[ attention_bwd.py:19:19 ] ]
	v_fma_mix_f32 v44, v41, v105, v17 op_sel_hi:[1,1,0]
	v_fma_mix_f32 v41, v107, v106, v18 op_sel_hi:[1,1,0]
	v_add_f32_dpp v82, v82, v82 row_shr:2 row_mask:0xf bank_mask:0xf bound_ctrl:1
	v_add_f32_dpp v34, v34, v34 row_shr:4 row_mask:0xf bank_mask:0xf bound_ctrl:1
	;; [unrolled: 1-line block ×3, first 2 shown]
.Ltmp94:
	.loc	1 18 50                         ; attention_bwd.py:18:50
	v_add_co_u32 v11, vcc_lo, s6, v15
	s_delay_alu instid0(VALU_DEP_1) | instskip(SKIP_1) | instid1(VALU_DEP_1)
	v_add_co_ci_u32_e64 v12, null, s3, v16, vcc_lo
	.loc	1 17 48                         ; attention_bwd.py:17:48
	v_add_co_u32 v13, vcc_lo, s4, v15
	v_add_co_ci_u32_e64 v14, null, s5, v16, vcc_lo
	.loc	1 18 97                         ; attention_bwd.py:18:97
	s_waitcnt vmcnt(14)
	v_cvt_f32_f16_e32 v15, v127
	.loc	1 19 23                         ; attention_bwd.py:19:23
	v_cvt_f32_f16_e32 v16, v126
	.loc	1 18 78                         ; attention_bwd.py:18:78
	v_add_co_u32 v11, vcc_lo, v11, v69
	s_delay_alu instid0(VALU_DEP_1) | instskip(NEXT) | instid1(VALU_DEP_3)
	v_add_co_ci_u32_e64 v12, null, 0, v12, vcc_lo
	.loc	1 19 23                         ; attention_bwd.py:19:23
	v_mul_f32_e32 v15, v16, v15
	.loc	1 17 76                         ; attention_bwd.py:17:76
	v_add_co_u32 v13, vcc_lo, v13, v69
	.loc	1 18 17                         ; attention_bwd.py:18:17
	global_load_u16 v86, v[11:12], off
	.loc	1 17 76                         ; attention_bwd.py:17:76
	v_add_co_ci_u32_e64 v14, null, 0, v14, vcc_lo
.Ltmp95:
	.loc	2 293 36                        ; standard.py:293:36 @[ attention_bwd.py:19:19 ]
	v_mov_b32_dpp v11, v15 row_shr:8 row_mask:0xf bank_mask:0xf bound_ctrl:1
.Ltmp96:
	.loc	2 263 15                        ; standard.py:263:15 @[ standard.py:293:36 @[ attention_bwd.py:19:19 ] ]
	v_add_f32_dpp v82, v82, v82 row_shr:1 row_mask:0xf bank_mask:0xf bound_ctrl:1
	v_add_f32_dpp v34, v34, v34 row_shr:2 row_mask:0xf bank_mask:0xf bound_ctrl:1
.Ltmp97:
	.loc	1 17 16                         ; attention_bwd.py:17:16
	global_load_u16 v88, v[13:14], off
.Ltmp98:
	.loc	2 263 15                        ; standard.py:263:15 @[ standard.py:293:36 @[ attention_bwd.py:19:19 ] ]
	v_add_f32_dpp v99, v99, v99 row_shr:2 row_mask:0xf bank_mask:0xf bound_ctrl:1
	v_fma_mix_f32 v45, v126, v127, v11 op_sel_hi:[1,1,0]
	v_add_f32_dpp v95, v95, v95 row_shr:4 row_mask:0xf bank_mask:0xf bound_ctrl:1
	v_add_f32_dpp v34, v34, v34 row_shr:1 row_mask:0xf bank_mask:0xf bound_ctrl:1
	;; [unrolled: 1-line block ×15, first 2 shown]
.Ltmp99:
	.loc	1 19 23                         ; attention_bwd.py:19:23
	s_waitcnt vmcnt(15)
	v_cvt_f32_f16_e64 v17, v128
	s_waitcnt vmcnt(14)
	v_cvt_f32_f16_e32 v19, v110
.Ltmp100:
	.loc	2 263 15                        ; standard.py:263:15 @[ standard.py:293:36 @[ attention_bwd.py:19:19 ] ]
	v_add_f32_dpp v40, v40, v40 row_shr:1 row_mask:0xf bank_mask:0xf bound_ctrl:1
	v_add_f32_dpp v91, v91, v91 row_shr:1 row_mask:0xf bank_mask:0xf bound_ctrl:1
	v_add_f32_dpp v38, v38, v38 row_shr:4 row_mask:0xf bank_mask:0xf bound_ctrl:1
	v_add_f32_dpp v87, v87, v87 row_shr:4 row_mask:0xf bank_mask:0xf bound_ctrl:1
	v_add_f32_dpp v85, v85, v85 row_shr:4 row_mask:0xf bank_mask:0xf bound_ctrl:1
	v_add_f32_dpp v83, v83, v83 row_shr:4 row_mask:0xf bank_mask:0xf bound_ctrl:1
	v_add_f32_dpp v30, v30, v30 row_shr:4 row_mask:0xf bank_mask:0xf bound_ctrl:1
	v_add_f32_dpp v38, v38, v38 row_shr:2 row_mask:0xf bank_mask:0xf bound_ctrl:1
	v_add_f32_dpp v87, v87, v87 row_shr:2 row_mask:0xf bank_mask:0xf bound_ctrl:1
	v_add_f32_dpp v85, v85, v85 row_shr:2 row_mask:0xf bank_mask:0xf bound_ctrl:1
	v_add_f32_dpp v83, v83, v83 row_shr:2 row_mask:0xf bank_mask:0xf bound_ctrl:1
	v_add_f32_dpp v32, v32, v32 row_shr:4 row_mask:0xf bank_mask:0xf bound_ctrl:1
	v_add_f32_dpp v38, v38, v38 row_shr:1 row_mask:0xf bank_mask:0xf bound_ctrl:1
	v_add_f32_dpp v87, v87, v87 row_shr:1 row_mask:0xf bank_mask:0xf bound_ctrl:1
	v_add_f32_dpp v85, v85, v85 row_shr:1 row_mask:0xf bank_mask:0xf bound_ctrl:1
	v_add_f32_dpp v30, v30, v30 row_shr:2 row_mask:0xf bank_mask:0xf bound_ctrl:1
	v_add_f32_dpp v83, v83, v83 row_shr:1 row_mask:0xf bank_mask:0xf bound_ctrl:1
	v_add_f32_dpp v32, v32, v32 row_shr:2 row_mask:0xf bank_mask:0xf bound_ctrl:1
	v_add_f32_dpp v79, v79, v79 row_shr:4 row_mask:0xf bank_mask:0xf bound_ctrl:1
	v_add_f32_dpp v43, v43, v43 row_shr:4 row_mask:0xf bank_mask:0xf bound_ctrl:1
	v_add_f32_dpp v30, v30, v30 row_shr:1 row_mask:0xf bank_mask:0xf bound_ctrl:1
	v_add_f32_dpp v37, v37, v37 row_shr:4 row_mask:0xf bank_mask:0xf bound_ctrl:1
	v_add_f32_dpp v32, v32, v32 row_shr:1 row_mask:0xf bank_mask:0xf bound_ctrl:1
	v_add_f32_dpp v79, v79, v79 row_shr:2 row_mask:0xf bank_mask:0xf bound_ctrl:1
	v_add_f32_dpp v43, v43, v43 row_shr:2 row_mask:0xf bank_mask:0xf bound_ctrl:1
	v_add_f32_dpp v28, v28, v28 row_shr:4 row_mask:0xf bank_mask:0xf bound_ctrl:1
	v_add_f32_dpp v37, v37, v37 row_shr:2 row_mask:0xf bank_mask:0xf bound_ctrl:1
	v_add_f32_dpp v39, v39, v39 row_shr:4 row_mask:0xf bank_mask:0xf bound_ctrl:1
	v_add_f32_dpp v79, v79, v79 row_shr:1 row_mask:0xf bank_mask:0xf bound_ctrl:1
	v_add_f32_dpp v43, v43, v43 row_shr:1 row_mask:0xf bank_mask:0xf bound_ctrl:1
	v_add_f32_dpp v28, v28, v28 row_shr:2 row_mask:0xf bank_mask:0xf bound_ctrl:1
	v_add_f32_dpp v37, v37, v37 row_shr:1 row_mask:0xf bank_mask:0xf bound_ctrl:1
	v_add_f32_dpp v39, v39, v39 row_shr:2 row_mask:0xf bank_mask:0xf bound_ctrl:1
	v_add_f32_dpp v29, v29, v29 row_shr:4 row_mask:0xf bank_mask:0xf bound_ctrl:1
	v_add_f32_dpp v31, v31, v31 row_shr:4 row_mask:0xf bank_mask:0xf bound_ctrl:1
	v_add_f32_dpp v28, v28, v28 row_shr:1 row_mask:0xf bank_mask:0xf bound_ctrl:1
	v_add_f32_dpp v27, v27, v27 row_shr:4 row_mask:0xf bank_mask:0xf bound_ctrl:1
	v_add_f32_dpp v39, v39, v39 row_shr:1 row_mask:0xf bank_mask:0xf bound_ctrl:1
	v_add_f32_dpp v29, v29, v29 row_shr:2 row_mask:0xf bank_mask:0xf bound_ctrl:1
	v_add_f32_dpp v31, v31, v31 row_shr:2 row_mask:0xf bank_mask:0xf bound_ctrl:1
	s_delay_alu instid0(VALU_DEP_4) | instskip(NEXT) | instid1(VALU_DEP_3)
	v_add_f32_dpp v27, v27, v27 row_shr:2 row_mask:0xf bank_mask:0xf bound_ctrl:1
	v_add_f32_dpp v29, v29, v29 row_shr:1 row_mask:0xf bank_mask:0xf bound_ctrl:1
	s_delay_alu instid0(VALU_DEP_3) | instskip(NEXT) | instid1(VALU_DEP_3)
	v_add_f32_dpp v31, v31, v31 row_shr:1 row_mask:0xf bank_mask:0xf bound_ctrl:1
	v_add_f32_dpp v27, v27, v27 row_shr:1 row_mask:0xf bank_mask:0xf bound_ctrl:1
.Ltmp101:
	.loc	1 18 97                         ; attention_bwd.py:18:97
	s_waitcnt vmcnt(11)
	v_cvt_f32_f16_e32 v16, v114
	s_waitcnt vmcnt(10)
	v_cvt_f32_f16_e32 v18, v115
	s_delay_alu instid0(VALU_DEP_1) | instskip(SKIP_3) | instid1(VALU_DEP_3)
	.loc	1 19 23                         ; attention_bwd.py:19:23
	v_dual_mul_f32 v12, v17, v16 :: v_dual_mul_f32 v15, v19, v18
	v_cvt_f32_f16_e32 v17, v111
	.loc	1 18 97                         ; attention_bwd.py:18:97
	s_waitcnt vmcnt(9)
	v_cvt_f32_f16_e32 v16, v109
.Ltmp102:
	.loc	2 293 36                        ; standard.py:293:36 @[ attention_bwd.py:19:19 ]
	v_mov_b32_dpp v11, v12 row_shr:8 row_mask:0xf bank_mask:0xf bound_ctrl:1
	v_mov_b32_dpp v12, v15 row_shr:8 row_mask:0xf bank_mask:0xf bound_ctrl:1
.Ltmp103:
	.loc	1 19 23                         ; attention_bwd.py:19:23
	v_cvt_f32_f16_e32 v15, v116
	s_delay_alu instid0(VALU_DEP_4) | instskip(NEXT) | instid1(VALU_DEP_4)
	v_mul_f32_e32 v13, v17, v16
.Ltmp104:
	.loc	2 263 15                        ; standard.py:263:15 @[ standard.py:293:36 @[ attention_bwd.py:19:19 ] ]
	v_fma_mix_f32 v46, v128, v114, v11 op_sel_hi:[1,1,0]
.Ltmp105:
	.loc	1 13 54                         ; attention_bwd.py:13:54
	v_or_b32_e32 v11, 0x50, v50
	.loc	1 18 97                         ; attention_bwd.py:18:97
	s_waitcnt vmcnt(8)
	v_cvt_f32_f16_e32 v14, v113
.Ltmp106:
	.loc	2 263 15                        ; standard.py:263:15 @[ standard.py:293:36 @[ attention_bwd.py:19:19 ] ]
	v_fma_mix_f32 v89, v110, v115, v12 op_sel_hi:[1,1,0]
.Ltmp107:
	.loc	2 293 36                        ; standard.py:293:36 @[ attention_bwd.py:19:19 ]
	v_mov_b32_dpp v12, v13 row_shr:8 row_mask:0xf bank_mask:0xf bound_ctrl:1
.Ltmp108:
	.loc	1 13 41                         ; attention_bwd.py:13:41
	v_or_b32_e32 v13, s9, v11
	s_delay_alu instid0(VALU_DEP_4)
	.loc	1 19 23                         ; attention_bwd.py:19:23
	v_mul_f32_e32 v14, v15, v14
	.loc	1 18 97                         ; attention_bwd.py:18:97
	s_waitcnt vmcnt(7)
	v_cvt_f32_f16_e32 v15, v108
	.loc	1 19 23                         ; attention_bwd.py:19:23
	s_waitcnt vmcnt(6)
	v_cvt_f32_f16_e32 v16, v112
.Ltmp109:
	.loc	2 263 15                        ; standard.py:263:15 @[ standard.py:293:36 @[ attention_bwd.py:19:19 ] ]
	v_fma_mix_f32 v97, v111, v109, v12 op_sel_hi:[1,1,0]
.Ltmp110:
	.loc	1 18 97                         ; attention_bwd.py:18:97
	s_waitcnt vmcnt(5)
	v_cvt_f32_f16_e32 v17, v117
	.loc	1 19 23                         ; attention_bwd.py:19:23
	s_waitcnt vmcnt(4)
	v_cvt_f32_f16_e32 v18, v118
	.loc	1 17 65                         ; attention_bwd.py:17:65
	v_lshlrev_b32_e32 v13, 6, v13
	.loc	1 13 54                         ; attention_bwd.py:13:54
	v_or_b32_e32 v12, 0x52, v50
	.loc	1 19 23                         ; attention_bwd.py:19:23
	v_mul_f32_e32 v15, v16, v15
.Ltmp111:
	.loc	2 293 36                        ; standard.py:293:36 @[ attention_bwd.py:19:19 ]
	v_mov_b32_dpp v16, v14 row_shr:8 row_mask:0xf bank_mask:0xf bound_ctrl:1
.Ltmp112:
	.loc	1 19 23                         ; attention_bwd.py:19:23
	v_mul_f32_e32 v17, v18, v17
	.loc	1 17 48                         ; attention_bwd.py:17:48
	v_ashrrev_i32_e32 v14, 31, v13
	.loc	1 13 41                         ; attention_bwd.py:13:41
	v_or_b32_e32 v19, s9, v12
.Ltmp113:
	.loc	2 293 36                        ; standard.py:293:36 @[ attention_bwd.py:19:19 ]
	v_mov_b32_dpp v15, v15 row_shr:8 row_mask:0xf bank_mask:0xf bound_ctrl:1
.Ltmp114:
	.loc	2 263 15                        ; standard.py:263:15 @[ standard.py:293:36 @[ attention_bwd.py:19:19 ] ]
	v_fma_mix_f32 v101, v116, v113, v16 op_sel_hi:[1,1,0]
.Ltmp115:
	.loc	2 293 36                        ; standard.py:293:36 @[ attention_bwd.py:19:19 ]
	v_mov_b32_dpp v16, v17 row_shr:8 row_mask:0xf bank_mask:0xf bound_ctrl:1
.Ltmp116:
	.loc	1 17 48                         ; attention_bwd.py:17:48
	v_lshlrev_b64 v[17:18], 1, v[13:14]
	.loc	1 17 65 is_stmt 0               ; attention_bwd.py:17:65
	v_lshlrev_b32_e32 v14, 6, v19
	.loc	1 13 54 is_stmt 1               ; attention_bwd.py:13:54
	v_or_b32_e32 v13, 0x54, v50
.Ltmp117:
	.loc	2 263 15                        ; standard.py:263:15 @[ standard.py:293:36 @[ attention_bwd.py:19:19 ] ]
	v_fma_mix_f32 v100, v112, v108, v15 op_sel_hi:[1,1,0]
	v_fma_mix_f32 v102, v118, v117, v16 op_sel_hi:[1,1,0]
	s_delay_alu instid0(VALU_DEP_4) | instskip(NEXT) | instid1(VALU_DEP_4)
.Ltmp118:
	.loc	1 17 48                         ; attention_bwd.py:17:48
	v_ashrrev_i32_e32 v15, 31, v14
	.loc	1 13 41                         ; attention_bwd.py:13:41
	v_or_b32_e32 v20, s9, v13
	.loc	1 17 48                         ; attention_bwd.py:17:48
	v_add_co_u32 v16, vcc_lo, s4, v17
	s_delay_alu instid0(VALU_DEP_1) | instskip(NEXT) | instid1(VALU_DEP_4)
	v_add_co_ci_u32_e64 v23, null, s5, v18, vcc_lo
	v_lshlrev_b64 v[21:22], 1, v[14:15]
	.loc	1 13 54                         ; attention_bwd.py:13:54
	v_or_b32_e32 v14, 0x56, v50
	.loc	1 17 65                         ; attention_bwd.py:17:65
	v_lshlrev_b32_e32 v15, 6, v20
	.loc	1 17 76 is_stmt 0               ; attention_bwd.py:17:76
	v_add_co_u32 v19, vcc_lo, v16, v69
	s_delay_alu instid0(VALU_DEP_1) | instskip(NEXT) | instid1(VALU_DEP_4)
	v_add_co_ci_u32_e64 v20, null, 0, v23, vcc_lo
	.loc	1 13 41 is_stmt 1               ; attention_bwd.py:13:41
	v_or_b32_e32 v92, s9, v14
	s_delay_alu instid0(VALU_DEP_4) | instskip(SKIP_1) | instid1(VALU_DEP_1)
	.loc	1 17 48                         ; attention_bwd.py:17:48
	v_ashrrev_i32_e32 v16, 31, v15
	v_add_co_u32 v23, vcc_lo, s4, v21
	v_add_co_ci_u32_e64 v24, null, s5, v22, vcc_lo
	s_delay_alu instid0(VALU_DEP_4) | instskip(NEXT) | instid1(VALU_DEP_4)
	.loc	1 17 65 is_stmt 0               ; attention_bwd.py:17:65
	v_lshlrev_b32_e32 v92, 6, v92
	.loc	1 17 48                         ; attention_bwd.py:17:48
	v_lshlrev_b64 v[25:26], 1, v[15:16]
	.loc	1 13 54 is_stmt 1               ; attention_bwd.py:13:54
	v_or_b32_e32 v15, 0x58, v50
	v_or_b32_e32 v16, 0x5a, v50
	.loc	1 17 76                         ; attention_bwd.py:17:76
	v_add_co_u32 v23, vcc_lo, v23, v69
	.loc	1 17 48 is_stmt 0               ; attention_bwd.py:17:48
	v_ashrrev_i32_e32 v93, 31, v92
	s_delay_alu instid0(VALU_DEP_4) | instskip(SKIP_2) | instid1(VALU_DEP_4)
	.loc	1 13 41 is_stmt 1               ; attention_bwd.py:13:41
	v_or_b32_e32 v105, s9, v15
	.loc	1 17 76                         ; attention_bwd.py:17:76
	v_add_co_ci_u32_e64 v24, null, 0, v24, vcc_lo
	.loc	1 17 48 is_stmt 0               ; attention_bwd.py:17:48
	v_add_co_u32 v94, vcc_lo, s4, v25
	v_lshlrev_b64 v[107:108], 1, v[92:93]
	v_add_co_ci_u32_e64 v104, null, s5, v26, vcc_lo
	.loc	1 13 41 is_stmt 1               ; attention_bwd.py:13:41
	v_or_b32_e32 v92, s9, v16
	.loc	1 17 65                         ; attention_bwd.py:17:65
	v_lshlrev_b32_e32 v105, 6, v105
	.loc	1 17 76 is_stmt 0               ; attention_bwd.py:17:76
	v_add_co_u32 v103, vcc_lo, v94, v69
	s_delay_alu instid0(VALU_DEP_1) | instskip(SKIP_4) | instid1(VALU_DEP_4)
	v_add_co_ci_u32_e64 v104, null, 0, v104, vcc_lo
	.loc	1 17 48                         ; attention_bwd.py:17:48
	v_add_co_u32 v93, vcc_lo, s4, v107
	.loc	1 17 65                         ; attention_bwd.py:17:65
	v_lshlrev_b32_e32 v92, 6, v92
	.loc	1 17 48                         ; attention_bwd.py:17:48
	v_ashrrev_i32_e32 v106, 31, v105
	v_add_co_ci_u32_e64 v94, null, s5, v108, vcc_lo
	.loc	1 17 76                         ; attention_bwd.py:17:76
	v_add_co_u32 v109, vcc_lo, v93, v69
	s_delay_alu instid0(VALU_DEP_4) | instskip(NEXT) | instid1(VALU_DEP_4)
	.loc	1 17 48                         ; attention_bwd.py:17:48
	v_ashrrev_i32_e32 v93, 31, v92
	v_lshlrev_b64 v[105:106], 1, v[105:106]
	s_delay_alu instid0(VALU_DEP_4) | instskip(NEXT) | instid1(VALU_DEP_3)
	.loc	1 17 76                         ; attention_bwd.py:17:76
	v_add_co_ci_u32_e64 v110, null, 0, v94, vcc_lo
	.loc	1 17 48                         ; attention_bwd.py:17:48
	v_lshlrev_b64 v[111:112], 1, v[92:93]
	s_delay_alu instid0(VALU_DEP_3) | instskip(NEXT) | instid1(VALU_DEP_1)
	v_add_co_u32 v94, vcc_lo, s4, v105
	v_add_co_ci_u32_e64 v92, null, s5, v106, vcc_lo
	s_delay_alu instid0(VALU_DEP_3) | instskip(NEXT) | instid1(VALU_DEP_3)
	v_add_co_u32 v93, s2, s4, v111
	.loc	1 17 76                         ; attention_bwd.py:17:76
	v_add_co_u32 v113, vcc_lo, v94, v69
	.loc	1 17 48                         ; attention_bwd.py:17:48
	v_add_co_ci_u32_e64 v94, null, s5, v112, s2
	s_delay_alu instid0(VALU_DEP_4) | instskip(NEXT) | instid1(VALU_DEP_4)
	.loc	1 17 76                         ; attention_bwd.py:17:76
	v_add_co_ci_u32_e64 v114, null, 0, v92, vcc_lo
	v_add_co_u32 v115, vcc_lo, v93, v69
	s_delay_alu instid0(VALU_DEP_1)
	v_add_co_ci_u32_e64 v116, null, 0, v94, vcc_lo
	.loc	1 17 16                         ; attention_bwd.py:17:16
	s_clause 0x1
	global_load_u16 v92, v[19:20], off
	global_load_u16 v93, v[23:24], off
	.loc	1 18 50 is_stmt 1               ; attention_bwd.py:18:50
	v_add_co_u32 v19, vcc_lo, s6, v17
	.loc	1 13 54                         ; attention_bwd.py:13:54
	v_or_b32_e32 v17, 0x5c, v50
	.loc	1 18 50                         ; attention_bwd.py:18:50
	v_add_co_ci_u32_e64 v23, null, s3, v18, vcc_lo
	v_add_co_u32 v24, vcc_lo, s6, v21
	s_delay_alu instid0(VALU_DEP_3) | instskip(SKIP_2) | instid1(VALU_DEP_3)
	.loc	1 13 41                         ; attention_bwd.py:13:41
	v_or_b32_e32 v18, s9, v17
	.loc	1 18 50                         ; attention_bwd.py:18:50
	v_add_co_ci_u32_e64 v94, null, s3, v22, vcc_lo
	v_add_co_u32 v25, vcc_lo, s6, v25
	.loc	1 17 65                         ; attention_bwd.py:17:65
	v_lshlrev_b32_e32 v18, 6, v18
	.loc	1 18 50                         ; attention_bwd.py:18:50
	v_add_co_ci_u32_e64 v26, null, s3, v26, vcc_lo
	.loc	1 18 78 is_stmt 0               ; attention_bwd.py:18:78
	v_add_co_u32 v20, vcc_lo, v19, v69
	s_delay_alu instid0(VALU_DEP_3) | instskip(SKIP_2) | instid1(VALU_DEP_3)
	.loc	1 17 48 is_stmt 1               ; attention_bwd.py:17:48
	v_ashrrev_i32_e32 v19, 31, v18
	.loc	1 18 78                         ; attention_bwd.py:18:78
	v_add_co_ci_u32_e64 v21, null, 0, v23, vcc_lo
	v_add_co_u32 v22, vcc_lo, v24, v69
	.loc	1 17 48                         ; attention_bwd.py:17:48
	v_lshlrev_b64 v[18:19], 1, v[18:19]
	.loc	1 18 78                         ; attention_bwd.py:18:78
	v_add_co_ci_u32_e64 v23, null, 0, v94, vcc_lo
	v_add_co_u32 v24, vcc_lo, v25, v69
	s_delay_alu instid0(VALU_DEP_1) | instskip(SKIP_4) | instid1(VALU_DEP_1)
	v_add_co_ci_u32_e64 v25, null, 0, v26, vcc_lo
	.loc	1 18 17 is_stmt 0               ; attention_bwd.py:18:17
	s_clause 0x1
	global_load_u16 v94, v[20:21], off
	global_load_u16 v125, v[22:23], off
	.loc	1 17 48 is_stmt 1               ; attention_bwd.py:17:48
	v_add_co_u32 v20, vcc_lo, s4, v18
	v_add_co_ci_u32_e64 v21, null, s5, v19, vcc_lo
	.loc	1 17 16 is_stmt 0               ; attention_bwd.py:17:16
	s_clause 0x1
	global_load_u16 v126, v[103:104], off
	global_load_u16 v127, v[109:110], off
	.loc	1 18 17 is_stmt 1               ; attention_bwd.py:18:17
	global_load_u16 v128, v[24:25], off
	.loc	1 17 76                         ; attention_bwd.py:17:76
	v_add_co_u32 v20, vcc_lo, v20, v69
	s_delay_alu instid0(VALU_DEP_1) | instskip(SKIP_1) | instid1(VALU_DEP_1)
	v_add_co_ci_u32_e64 v21, null, 0, v21, vcc_lo
	.loc	1 18 50                         ; attention_bwd.py:18:50
	v_add_co_u32 v22, vcc_lo, s6, v107
	v_add_co_ci_u32_e64 v23, null, s3, v108, vcc_lo
	v_add_co_u32 v24, vcc_lo, s6, v105
	s_delay_alu instid0(VALU_DEP_1) | instskip(NEXT) | instid1(VALU_DEP_4)
	v_add_co_ci_u32_e64 v25, null, s3, v106, vcc_lo
	.loc	1 18 78 is_stmt 0               ; attention_bwd.py:18:78
	v_add_co_u32 v22, vcc_lo, v22, v69
	s_delay_alu instid0(VALU_DEP_1) | instskip(SKIP_1) | instid1(VALU_DEP_1)
	v_add_co_ci_u32_e64 v23, null, 0, v23, vcc_lo
	.loc	1 18 50                         ; attention_bwd.py:18:50
	v_add_co_u32 v26, vcc_lo, s6, v111
	v_add_co_ci_u32_e64 v104, null, s3, v112, vcc_lo
	v_add_co_u32 v105, vcc_lo, s6, v18
	.loc	1 13 54 is_stmt 1               ; attention_bwd.py:13:54
	v_or_b32_e32 v18, 0x5e, v50
	.loc	1 18 17                         ; attention_bwd.py:18:17
	global_load_u16 v129, v[22:23], off
	.loc	1 18 50 is_stmt 0               ; attention_bwd.py:18:50
	v_add_co_ci_u32_e64 v19, null, s3, v19, vcc_lo
	.loc	1 18 78                         ; attention_bwd.py:18:78
	v_add_co_u32 v22, vcc_lo, v24, v69
	.loc	1 13 41 is_stmt 1               ; attention_bwd.py:13:41
	v_or_b32_e32 v103, s9, v18
	.loc	1 18 78                         ; attention_bwd.py:18:78
	v_add_co_ci_u32_e64 v23, null, 0, v25, vcc_lo
	v_add_co_u32 v24, vcc_lo, v26, v69
	s_delay_alu instid0(VALU_DEP_3) | instskip(SKIP_2) | instid1(VALU_DEP_3)
	.loc	1 17 65                         ; attention_bwd.py:17:65
	v_lshlrev_b32_e32 v103, 6, v103
	.loc	1 18 78                         ; attention_bwd.py:18:78
	v_add_co_ci_u32_e64 v25, null, 0, v104, vcc_lo
	v_add_co_u32 v105, vcc_lo, v105, v69
	.loc	1 17 48                         ; attention_bwd.py:17:48
	v_ashrrev_i32_e32 v104, 31, v103
	.loc	1 18 78                         ; attention_bwd.py:18:78
	v_add_co_ci_u32_e64 v106, null, 0, v19, vcc_lo
	.loc	1 18 17 is_stmt 0               ; attention_bwd.py:18:17
	global_load_u16 v130, v[22:23], off
	.loc	1 17 16 is_stmt 1               ; attention_bwd.py:17:16
	global_load_u16 v131, v[113:114], off
	.loc	1 13 54                         ; attention_bwd.py:13:54
	v_or_b32_e32 v19, 0x60, v50
	.loc	1 17 48                         ; attention_bwd.py:17:48
	v_lshlrev_b64 v[22:23], 1, v[103:104]
	.loc	1 17 16 is_stmt 0               ; attention_bwd.py:17:16
	s_clause 0x1
	global_load_u16 v132, v[115:116], off
	global_load_u16 v133, v[20:21], off
	.loc	1 18 17 is_stmt 1               ; attention_bwd.py:18:17
	s_clause 0x1
	global_load_u16 v134, v[24:25], off
	global_load_u16 v135, v[105:106], off
	.loc	1 13 41                         ; attention_bwd.py:13:41
	v_or_b32_e32 v21, s9, v19
	.loc	1 18 50                         ; attention_bwd.py:18:50
	v_add_co_u32 v20, vcc_lo, s6, v22
	s_delay_alu instid0(VALU_DEP_1) | instskip(SKIP_1) | instid1(VALU_DEP_4)
	v_add_co_ci_u32_e64 v24, null, s3, v23, vcc_lo
	.loc	1 17 48                         ; attention_bwd.py:17:48
	v_add_co_u32 v25, vcc_lo, s4, v22
	.loc	1 17 65 is_stmt 0               ; attention_bwd.py:17:65
	v_lshlrev_b32_e32 v21, 6, v21
	.loc	1 17 48                         ; attention_bwd.py:17:48
	v_add_co_ci_u32_e64 v26, null, s5, v23, vcc_lo
	.loc	1 18 78 is_stmt 1               ; attention_bwd.py:18:78
	v_add_co_u32 v23, vcc_lo, v20, v69
	.loc	1 13 54                         ; attention_bwd.py:13:54
	v_or_b32_e32 v20, 0x62, v50
	s_delay_alu instid0(VALU_DEP_4) | instskip(SKIP_2) | instid1(VALU_DEP_4)
	.loc	1 17 48                         ; attention_bwd.py:17:48
	v_ashrrev_i32_e32 v22, 31, v21
	.loc	1 18 78                         ; attention_bwd.py:18:78
	v_add_co_ci_u32_e64 v24, null, 0, v24, vcc_lo
	.loc	1 17 76                         ; attention_bwd.py:17:76
	v_add_co_u32 v25, vcc_lo, v25, v69
	.loc	1 13 41                         ; attention_bwd.py:13:41
	v_or_b32_e32 v107, s9, v20
	s_delay_alu instid0(VALU_DEP_4)
	.loc	1 17 48                         ; attention_bwd.py:17:48
	v_lshlrev_b64 v[103:104], 1, v[21:22]
	.loc	1 17 76 is_stmt 0               ; attention_bwd.py:17:76
	v_add_co_ci_u32_e64 v26, null, 0, v26, vcc_lo
	.loc	1 18 17 is_stmt 1               ; attention_bwd.py:18:17
	global_load_u16 v136, v[23:24], off
	.loc	1 17 16                         ; attention_bwd.py:17:16
	global_load_u16 v137, v[25:26], off
	.loc	1 17 65 is_stmt 0               ; attention_bwd.py:17:65
	v_lshlrev_b32_e32 v22, 6, v107
	.loc	1 17 48                         ; attention_bwd.py:17:48
	v_add_co_u32 v24, vcc_lo, s4, v103
	.loc	1 13 54 is_stmt 1               ; attention_bwd.py:13:54
	v_or_b32_e32 v21, 0x64, v50
	.loc	1 17 48                         ; attention_bwd.py:17:48
	v_add_co_ci_u32_e64 v26, null, s5, v104, vcc_lo
	s_delay_alu instid0(VALU_DEP_4) | instskip(NEXT) | instid1(VALU_DEP_4)
	v_ashrrev_i32_e32 v23, 31, v22
	.loc	1 17 76 is_stmt 0               ; attention_bwd.py:17:76
	v_add_co_u32 v25, vcc_lo, v24, v69
	s_delay_alu instid0(VALU_DEP_4) | instskip(NEXT) | instid1(VALU_DEP_4)
	.loc	1 13 41 is_stmt 1               ; attention_bwd.py:13:41
	v_or_b32_e32 v24, s9, v21
	.loc	1 17 76                         ; attention_bwd.py:17:76
	v_add_co_ci_u32_e64 v26, null, 0, v26, vcc_lo
	s_delay_alu instid0(VALU_DEP_4) | instskip(SKIP_1) | instid1(VALU_DEP_4)
	.loc	1 17 48 is_stmt 0               ; attention_bwd.py:17:48
	v_lshlrev_b64 v[105:106], 1, v[22:23]
	.loc	1 13 54 is_stmt 1               ; attention_bwd.py:13:54
	v_or_b32_e32 v22, 0x66, v50
	.loc	1 17 65                         ; attention_bwd.py:17:65
	v_lshlrev_b32_e32 v107, 6, v24
	s_delay_alu instid0(VALU_DEP_3) | instskip(NEXT) | instid1(VALU_DEP_3)
	.loc	1 17 48 is_stmt 0               ; attention_bwd.py:17:48
	v_add_co_u32 v23, vcc_lo, s4, v105
	.loc	1 13 41 is_stmt 1               ; attention_bwd.py:13:41
	v_or_b32_e32 v24, s9, v22
	s_delay_alu instid0(VALU_DEP_3) | instskip(SKIP_1) | instid1(VALU_DEP_4)
	.loc	1 17 48                         ; attention_bwd.py:17:48
	v_ashrrev_i32_e32 v108, 31, v107
	v_add_co_ci_u32_e64 v110, null, s5, v106, vcc_lo
	.loc	1 17 76 is_stmt 0               ; attention_bwd.py:17:76
	v_add_co_u32 v109, vcc_lo, v23, v69
	.loc	1 13 54 is_stmt 1               ; attention_bwd.py:13:54
	v_or_b32_e32 v23, 0x68, v50
	.loc	1 17 65                         ; attention_bwd.py:17:65
	v_lshlrev_b32_e32 v111, 6, v24
	.loc	1 17 48 is_stmt 0               ; attention_bwd.py:17:48
	v_lshlrev_b64 v[107:108], 1, v[107:108]
	.loc	1 17 76                         ; attention_bwd.py:17:76
	v_add_co_ci_u32_e64 v110, null, 0, v110, vcc_lo
	s_delay_alu instid0(VALU_DEP_4) | instskip(NEXT) | instid1(VALU_DEP_4)
	.loc	1 13 41 is_stmt 1               ; attention_bwd.py:13:41
	v_or_b32_e32 v24, s9, v23
	.loc	1 17 48                         ; attention_bwd.py:17:48
	v_ashrrev_i32_e32 v112, 31, v111
	.loc	1 17 16 is_stmt 0               ; attention_bwd.py:17:16
	s_clause 0x1
	global_load_u16 v138, v[25:26], off
	global_load_u16 v139, v[109:110], off
	.loc	1 17 48                         ; attention_bwd.py:17:48
	v_add_co_u32 v114, vcc_lo, s4, v107
	.loc	1 17 65                         ; attention_bwd.py:17:65
	v_lshlrev_b32_e32 v113, 6, v24
	.loc	1 17 48                         ; attention_bwd.py:17:48
	v_lshlrev_b64 v[111:112], 1, v[111:112]
	v_add_co_ci_u32_e64 v116, null, s5, v108, vcc_lo
	s_delay_alu instid0(VALU_DEP_4) | instskip(NEXT) | instid1(VALU_DEP_4)
	.loc	1 17 76                         ; attention_bwd.py:17:76
	v_add_co_u32 v115, vcc_lo, v114, v69
	.loc	1 17 48                         ; attention_bwd.py:17:48
	v_ashrrev_i32_e32 v114, 31, v113
	s_delay_alu instid0(VALU_DEP_3) | instskip(SKIP_1) | instid1(VALU_DEP_3)
	.loc	1 17 76                         ; attention_bwd.py:17:76
	v_add_co_ci_u32_e64 v116, null, 0, v116, vcc_lo
	.loc	1 17 48                         ; attention_bwd.py:17:48
	v_add_co_u32 v24, vcc_lo, s4, v111
	v_lshlrev_b64 v[113:114], 1, v[113:114]
	v_add_co_ci_u32_e64 v118, null, s5, v112, vcc_lo
	s_delay_alu instid0(VALU_DEP_3) | instskip(NEXT) | instid1(VALU_DEP_1)
	.loc	1 17 76                         ; attention_bwd.py:17:76
	v_add_co_u32 v117, vcc_lo, v24, v69
	v_add_co_ci_u32_e64 v118, null, 0, v118, vcc_lo
	s_delay_alu instid0(VALU_DEP_4) | instskip(NEXT) | instid1(VALU_DEP_1)
	.loc	1 17 48                         ; attention_bwd.py:17:48
	v_add_co_u32 v24, vcc_lo, s4, v113
	v_add_co_ci_u32_e64 v120, null, s5, v114, vcc_lo
	s_delay_alu instid0(VALU_DEP_2) | instskip(SKIP_1) | instid1(VALU_DEP_3)
	.loc	1 17 76                         ; attention_bwd.py:17:76
	v_add_co_u32 v119, vcc_lo, v24, v69
	.loc	1 13 54 is_stmt 1               ; attention_bwd.py:13:54
	v_or_b32_e32 v24, 0x6a, v50
	.loc	1 17 76                         ; attention_bwd.py:17:76
	v_add_co_ci_u32_e64 v120, null, 0, v120, vcc_lo
	s_delay_alu instid0(VALU_DEP_2) | instskip(NEXT) | instid1(VALU_DEP_1)
	.loc	1 13 41                         ; attention_bwd.py:13:41
	v_or_b32_e32 v121, s9, v24
	.loc	1 17 65                         ; attention_bwd.py:17:65
	v_lshlrev_b32_e32 v121, 6, v121
	s_delay_alu instid0(VALU_DEP_1) | instskip(NEXT) | instid1(VALU_DEP_1)
	.loc	1 17 48 is_stmt 0               ; attention_bwd.py:17:48
	v_ashrrev_i32_e32 v122, 31, v121
	v_lshlrev_b64 v[121:122], 1, v[121:122]
	s_delay_alu instid0(VALU_DEP_1) | instskip(NEXT) | instid1(VALU_DEP_1)
	v_add_co_u32 v123, vcc_lo, s4, v121
	v_add_co_ci_u32_e64 v124, null, s5, v122, vcc_lo
	s_delay_alu instid0(VALU_DEP_2) | instskip(NEXT) | instid1(VALU_DEP_1)
	.loc	1 17 76                         ; attention_bwd.py:17:76
	v_add_co_u32 v123, vcc_lo, v123, v69
	v_add_co_ci_u32_e64 v124, null, 0, v124, vcc_lo
	.loc	1 18 50 is_stmt 1               ; attention_bwd.py:18:50
	v_add_co_u32 v25, vcc_lo, s6, v103
	s_delay_alu instid0(VALU_DEP_1) | instskip(SKIP_1) | instid1(VALU_DEP_1)
	v_add_co_ci_u32_e64 v26, null, s3, v104, vcc_lo
	v_add_co_u32 v103, vcc_lo, s6, v105
	v_add_co_ci_u32_e64 v104, null, s3, v106, vcc_lo
	v_add_co_u32 v105, vcc_lo, s6, v107
	s_delay_alu instid0(VALU_DEP_1) | instskip(SKIP_1) | instid1(VALU_DEP_1)
	v_add_co_ci_u32_e64 v106, null, s3, v108, vcc_lo
	.loc	1 18 78 is_stmt 0               ; attention_bwd.py:18:78
	v_add_co_u32 v25, vcc_lo, v25, v69
	v_add_co_ci_u32_e64 v26, null, 0, v26, vcc_lo
	v_add_co_u32 v103, vcc_lo, v103, v69
	s_delay_alu instid0(VALU_DEP_1)
	v_add_co_ci_u32_e64 v104, null, 0, v104, vcc_lo
	.loc	1 18 17                         ; attention_bwd.py:18:17
	s_clause 0x1
	global_load_u16 v140, v[25:26], off
	global_load_u16 v141, v[103:104], off
	.loc	1 13 54 is_stmt 1               ; attention_bwd.py:13:54
	v_or_b32_e32 v25, 0x6c, v50
	.loc	1 18 78                         ; attention_bwd.py:18:78
	v_add_co_u32 v105, vcc_lo, v105, v69
	s_delay_alu instid0(VALU_DEP_1) | instskip(NEXT) | instid1(VALU_DEP_3)
	v_add_co_ci_u32_e64 v106, null, 0, v106, vcc_lo
	.loc	1 13 41                         ; attention_bwd.py:13:41
	v_or_b32_e32 v26, s9, v25
	.loc	1 17 16                         ; attention_bwd.py:17:16
	s_clause 0x1
	global_load_u16 v116, v[115:116], off
	global_load_u16 v117, v[117:118], off
	.loc	1 18 17                         ; attention_bwd.py:18:17
	global_load_u16 v118, v[105:106], off
	.loc	1 17 65                         ; attention_bwd.py:17:65
	v_lshlrev_b32_e32 v103, 6, v26
	s_delay_alu instid0(VALU_DEP_1) | instskip(NEXT) | instid1(VALU_DEP_1)
	.loc	1 17 48 is_stmt 0               ; attention_bwd.py:17:48
	v_ashrrev_i32_e32 v104, 31, v103
	v_lshlrev_b64 v[103:104], 1, v[103:104]
	s_delay_alu instid0(VALU_DEP_1) | instskip(NEXT) | instid1(VALU_DEP_1)
	v_add_co_u32 v26, vcc_lo, s4, v103
	v_add_co_ci_u32_e64 v108, null, s5, v104, vcc_lo
	s_delay_alu instid0(VALU_DEP_2) | instskip(NEXT) | instid1(VALU_DEP_1)
	.loc	1 17 76                         ; attention_bwd.py:17:76
	v_add_co_u32 v107, vcc_lo, v26, v69
	v_add_co_ci_u32_e64 v108, null, 0, v108, vcc_lo
	.loc	1 18 50 is_stmt 1               ; attention_bwd.py:18:50
	v_add_co_u32 v26, vcc_lo, s6, v111
	s_delay_alu instid0(VALU_DEP_1) | instskip(SKIP_1) | instid1(VALU_DEP_1)
	v_add_co_ci_u32_e64 v106, null, s3, v112, vcc_lo
	v_add_co_u32 v109, vcc_lo, s6, v113
	v_add_co_ci_u32_e64 v110, null, s3, v114, vcc_lo
	s_delay_alu instid0(VALU_DEP_4) | instskip(NEXT) | instid1(VALU_DEP_1)
	.loc	1 18 78 is_stmt 0               ; attention_bwd.py:18:78
	v_add_co_u32 v105, vcc_lo, v26, v69
	v_add_co_ci_u32_e64 v106, null, 0, v106, vcc_lo
	.loc	1 18 50                         ; attention_bwd.py:18:50
	v_add_co_u32 v26, vcc_lo, s6, v121
	s_delay_alu instid0(VALU_DEP_1) | instskip(SKIP_1) | instid1(VALU_DEP_1)
	v_add_co_ci_u32_e64 v111, null, s3, v122, vcc_lo
	v_add_co_u32 v112, vcc_lo, s6, v103
	v_add_co_ci_u32_e64 v113, null, s3, v104, vcc_lo
	.loc	1 18 78                         ; attention_bwd.py:18:78
	v_add_co_u32 v103, vcc_lo, v109, v69
	.loc	1 18 17                         ; attention_bwd.py:18:17
	global_load_u16 v121, v[105:106], off
	.loc	1 18 78                         ; attention_bwd.py:18:78
	v_add_co_ci_u32_e64 v104, null, 0, v110, vcc_lo
	v_add_co_u32 v105, vcc_lo, v26, v69
	.loc	1 13 54 is_stmt 1               ; attention_bwd.py:13:54
	v_or_b32_e32 v26, 0x6e, v50
	.loc	1 18 17                         ; attention_bwd.py:18:17
	global_load_u16 v122, v[103:104], off
	.loc	1 17 16                         ; attention_bwd.py:17:16
	s_clause 0x1
	global_load_u16 v119, v[119:120], off
	global_load_u16 v120, v[123:124], off
	.loc	1 18 78                         ; attention_bwd.py:18:78
	v_add_co_ci_u32_e64 v106, null, 0, v111, vcc_lo
	v_add_co_u32 v109, vcc_lo, v112, v69
	.loc	1 13 41                         ; attention_bwd.py:13:41
	v_or_b32_e32 v103, s9, v26
	.loc	1 18 17                         ; attention_bwd.py:18:17
	global_load_u16 v123, v[105:106], off
	.loc	1 18 78 is_stmt 0               ; attention_bwd.py:18:78
	v_add_co_ci_u32_e64 v110, null, 0, v113, vcc_lo
	.loc	1 17 65 is_stmt 1               ; attention_bwd.py:17:65
	v_lshlrev_b32_e32 v103, 6, v103
	s_delay_alu instid0(VALU_DEP_1) | instskip(NEXT) | instid1(VALU_DEP_1)
	.loc	1 17 48 is_stmt 0               ; attention_bwd.py:17:48
	v_ashrrev_i32_e32 v104, 31, v103
	v_lshlrev_b64 v[103:104], 1, v[103:104]
	s_delay_alu instid0(VALU_DEP_1) | instskip(NEXT) | instid1(VALU_DEP_1)
	.loc	1 18 50 is_stmt 1               ; attention_bwd.py:18:50
	v_add_co_u32 v105, vcc_lo, s6, v103
	v_add_co_ci_u32_e64 v106, null, s3, v104, vcc_lo
	.loc	1 17 48                         ; attention_bwd.py:17:48
	v_add_co_u32 v111, vcc_lo, s4, v103
	s_delay_alu instid0(VALU_DEP_1) | instskip(NEXT) | instid1(VALU_DEP_4)
	v_add_co_ci_u32_e64 v112, null, s5, v104, vcc_lo
	.loc	1 18 78                         ; attention_bwd.py:18:78
	v_add_co_u32 v103, vcc_lo, v105, v69
	s_delay_alu instid0(VALU_DEP_1) | instskip(NEXT) | instid1(VALU_DEP_4)
	v_add_co_ci_u32_e64 v104, null, 0, v106, vcc_lo
	.loc	1 17 76                         ; attention_bwd.py:17:76
	v_add_co_u32 v105, vcc_lo, v111, v69
	s_delay_alu instid0(VALU_DEP_1)
	v_add_co_ci_u32_e64 v106, null, 0, v112, vcc_lo
	.loc	1 18 17                         ; attention_bwd.py:18:17
	global_load_u16 v124, v[109:110], off
	.loc	1 17 16                         ; attention_bwd.py:17:16
	global_load_u16 v142, v[107:108], off
	;; [unrolled: 2-line block ×4, first 2 shown]
	.loc	1 18 97                         ; attention_bwd.py:18:97
	s_waitcnt vmcnt(34)
	v_cvt_f32_f16_e32 v103, v81
	.loc	1 19 23                         ; attention_bwd.py:19:23
	v_cvt_f32_f16_e32 v104, v78
	s_delay_alu instid0(VALU_DEP_1) | instskip(NEXT) | instid1(VALU_DEP_1)
	v_mul_f32_e32 v103, v104, v103
.Ltmp119:
	.loc	2 293 36                        ; standard.py:293:36 @[ attention_bwd.py:19:19 ]
	v_mov_b32_dpp v103, v103 row_shr:8 row_mask:0xf bank_mask:0xf bound_ctrl:1
	s_delay_alu instid0(VALU_DEP_1) | instskip(SKIP_4) | instid1(VALU_DEP_1)
.Ltmp120:
	.loc	2 263 15                        ; standard.py:263:15 @[ standard.py:293:36 @[ attention_bwd.py:19:19 ] ]
	v_fma_mix_f32 v113, v78, v81, v103 op_sel_hi:[1,1,0]
.Ltmp121:
	.loc	1 18 97                         ; attention_bwd.py:18:97
	s_waitcnt vmcnt(33)
	v_cvt_f32_f16_e32 v78, v86
	.loc	1 19 23                         ; attention_bwd.py:19:23
	s_waitcnt vmcnt(32)
	v_cvt_f32_f16_e32 v81, v88
	v_mul_f32_e32 v78, v81, v78
	s_waitcnt vmcnt(31)
	v_cvt_f32_f16_e32 v81, v92
	s_delay_alu instid0(VALU_DEP_2) | instskip(NEXT) | instid1(VALU_DEP_1)
.Ltmp122:
	.loc	2 293 36                        ; standard.py:293:36 @[ attention_bwd.py:19:19 ]
	v_mov_b32_dpp v78, v78 row_shr:8 row_mask:0xf bank_mask:0xf bound_ctrl:1
.Ltmp123:
	.loc	2 263 15                        ; standard.py:263:15 @[ standard.py:293:36 @[ attention_bwd.py:19:19 ] ]
	v_fma_mix_f32 v114, v88, v86, v78 op_sel_hi:[1,1,0]
.Ltmp124:
	.loc	1 18 97                         ; attention_bwd.py:18:97
	s_waitcnt vmcnt(29)
	v_cvt_f32_f16_e32 v78, v94
	.loc	1 19 23                         ; attention_bwd.py:19:23
	v_cvt_f32_f16_e32 v86, v93
	s_waitcnt vmcnt(27)
	v_cvt_f32_f16_e32 v88, v126
	s_delay_alu instid0(VALU_DEP_3) | instskip(SKIP_1) | instid1(VALU_DEP_2)
	v_mul_f32_e32 v78, v81, v78
	.loc	1 18 97                         ; attention_bwd.py:18:97
	v_cvt_f32_f16_e32 v81, v125
.Ltmp125:
	.loc	2 293 36                        ; standard.py:293:36 @[ attention_bwd.py:19:19 ]
	v_mov_b32_dpp v78, v78 row_shr:8 row_mask:0xf bank_mask:0xf bound_ctrl:1
	s_delay_alu instid0(VALU_DEP_2) | instskip(SKIP_2) | instid1(VALU_DEP_3)
.Ltmp126:
	.loc	1 19 23                         ; attention_bwd.py:19:23
	v_mul_f32_e32 v81, v86, v81
	.loc	1 18 97                         ; attention_bwd.py:18:97
	s_waitcnt vmcnt(25)
	v_cvt_f32_f16_e64 v86, v128
.Ltmp127:
	.loc	2 263 15                        ; standard.py:263:15 @[ standard.py:293:36 @[ attention_bwd.py:19:19 ] ]
	v_fma_mix_f32 v115, v92, v94, v78 op_sel_hi:[1,1,0]
	s_delay_alu instid0(VALU_DEP_3) | instskip(NEXT) | instid1(VALU_DEP_3)
.Ltmp128:
	.loc	2 293 36                        ; standard.py:293:36 @[ attention_bwd.py:19:19 ]
	v_mov_b32_dpp v81, v81 row_shr:8 row_mask:0xf bank_mask:0xf bound_ctrl:1
.Ltmp129:
	.loc	1 19 23                         ; attention_bwd.py:19:23
	v_mul_f32_e32 v86, v88, v86
	s_delay_alu instid0(VALU_DEP_2) | instskip(NEXT) | instid1(VALU_DEP_2)
.Ltmp130:
	.loc	2 263 15                        ; standard.py:263:15 @[ standard.py:293:36 @[ attention_bwd.py:19:19 ] ]
	v_fma_mix_f32 v108, v93, v125, v81 op_sel_hi:[1,1,0]
.Ltmp131:
	.loc	2 293 36                        ; standard.py:293:36 @[ attention_bwd.py:19:19 ]
	v_mov_b32_dpp v78, v86 row_shr:8 row_mask:0xf bank_mask:0xf bound_ctrl:1
.Ltmp132:
	.loc	1 18 97                         ; attention_bwd.py:18:97
	s_waitcnt vmcnt(24)
	v_cvt_f32_f16_e64 v81, v129
	.loc	1 19 23                         ; attention_bwd.py:19:23
	v_cvt_f32_f16_e32 v86, v127
	.loc	1 18 97                         ; attention_bwd.py:18:97
	s_waitcnt vmcnt(23)
	v_cvt_f32_f16_e64 v88, v130
	.loc	1 19 23                         ; attention_bwd.py:19:23
	s_waitcnt vmcnt(22)
	v_cvt_f32_f16_e64 v92, v131
.Ltmp133:
	.loc	2 263 15                        ; standard.py:263:15 @[ standard.py:293:36 @[ attention_bwd.py:19:19 ] ]
	v_fma_mix_f32 v109, v126, v128, v78 op_sel_hi:[1,1,0]
.Ltmp134:
	.loc	1 19 23                         ; attention_bwd.py:19:23
	v_mul_f32_e32 v78, v86, v81
	.loc	1 18 97                         ; attention_bwd.py:18:97
	s_waitcnt vmcnt(19)
	v_cvt_f32_f16_e64 v86, v134
	.loc	1 19 23                         ; attention_bwd.py:19:23
	v_cvt_f32_f16_e64 v93, v133
	v_mul_f32_e32 v81, v92, v88
	v_cvt_f32_f16_e64 v88, v132
	.loc	1 18 97                         ; attention_bwd.py:18:97
	s_waitcnt vmcnt(18)
	v_cvt_f32_f16_e64 v92, v135
.Ltmp135:
	.loc	2 293 36                        ; standard.py:293:36 @[ attention_bwd.py:19:19 ]
	v_mov_b32_dpp v78, v78 row_shr:8 row_mask:0xf bank_mask:0xf bound_ctrl:1
	v_mov_b32_dpp v81, v81 row_shr:8 row_mask:0xf bank_mask:0xf bound_ctrl:1
.Ltmp136:
	.loc	1 19 23                         ; attention_bwd.py:19:23
	v_mul_f32_e32 v86, v88, v86
	s_delay_alu instid0(VALU_DEP_4) | instskip(NEXT) | instid1(VALU_DEP_4)
	v_mul_f32_e32 v88, v93, v92
.Ltmp137:
	.loc	2 263 15                        ; standard.py:263:15 @[ standard.py:293:36 @[ attention_bwd.py:19:19 ] ]
	v_fma_mix_f32 v112, v127, v129, v78 op_sel_hi:[1,1,0]
	s_delay_alu instid0(VALU_DEP_4) | instskip(NEXT) | instid1(VALU_DEP_4)
	v_fma_mix_f32 v110, v131, v130, v81 op_sel_hi:[1,1,0]
.Ltmp138:
	.loc	2 293 36                        ; standard.py:293:36 @[ attention_bwd.py:19:19 ]
	v_mov_b32_dpp v78, v86 row_shr:8 row_mask:0xf bank_mask:0xf bound_ctrl:1
	s_delay_alu instid0(VALU_DEP_4) | instskip(NEXT) | instid1(VALU_DEP_2)
	v_mov_b32_dpp v81, v88 row_shr:8 row_mask:0xf bank_mask:0xf bound_ctrl:1
.Ltmp139:
	.loc	2 263 15                        ; standard.py:263:15 @[ standard.py:293:36 @[ attention_bwd.py:19:19 ] ]
	v_fma_mix_f32 v111, v132, v134, v78 op_sel_hi:[1,1,0]
	s_delay_alu instid0(VALU_DEP_2) | instskip(SKIP_4) | instid1(VALU_DEP_1)
	v_fma_mix_f32 v105, v133, v135, v81 op_sel_hi:[1,1,0]
.Ltmp140:
	.loc	1 18 97                         ; attention_bwd.py:18:97
	s_waitcnt vmcnt(17)
	v_cvt_f32_f16_e64 v92, v136
	.loc	1 19 23                         ; attention_bwd.py:19:23
	s_waitcnt vmcnt(16)
	v_cvt_f32_f16_e64 v93, v137
	v_mul_f32_e32 v86, v93, v92
	s_delay_alu instid0(VALU_DEP_1) | instskip(NEXT) | instid1(VALU_DEP_1)
.Ltmp141:
	.loc	2 293 36                        ; standard.py:293:36 @[ attention_bwd.py:19:19 ]
	v_mov_b32_dpp v78, v86 row_shr:8 row_mask:0xf bank_mask:0xf bound_ctrl:1
.Ltmp142:
	.loc	2 263 15                        ; standard.py:263:15 @[ standard.py:293:36 @[ attention_bwd.py:19:19 ] ]
	v_fma_mix_f32 v106, v137, v136, v78 op_sel_hi:[1,1,0]
.Ltmp143:
	.loc	1 19 23                         ; attention_bwd.py:19:23
	s_waitcnt vmcnt(15)
	v_cvt_f32_f16_e64 v92, v138
	s_waitcnt vmcnt(14)
	v_cvt_f32_f16_e64 v94, v139
	.loc	1 18 97                         ; attention_bwd.py:18:97
	s_waitcnt vmcnt(13)
	v_cvt_f32_f16_e64 v88, v140
	s_waitcnt vmcnt(12)
	v_cvt_f32_f16_e64 v93, v141
	s_delay_alu instid0(VALU_DEP_1)
	.loc	1 19 23                         ; attention_bwd.py:19:23
	v_dual_mul_f32 v81, v92, v88 :: v_dual_mul_f32 v86, v94, v93
	s_waitcnt vmcnt(11)
	v_cvt_f32_f16_e32 v92, v116
	.loc	1 18 97                         ; attention_bwd.py:18:97
	s_waitcnt vmcnt(9)
	v_cvt_f32_f16_e32 v88, v118
	.loc	1 19 23                         ; attention_bwd.py:19:23
	v_cvt_f32_f16_e32 v94, v117
.Ltmp144:
	.loc	2 293 36                        ; standard.py:293:36 @[ attention_bwd.py:19:19 ]
	v_mov_b32_dpp v78, v81 row_shr:8 row_mask:0xf bank_mask:0xf bound_ctrl:1
	v_mov_b32_dpp v81, v86 row_shr:8 row_mask:0xf bank_mask:0xf bound_ctrl:1
	s_delay_alu instid0(VALU_DEP_4) | instskip(NEXT) | instid1(VALU_DEP_3)
.Ltmp145:
	.loc	1 19 23                         ; attention_bwd.py:19:23
	v_mul_f32_e32 v86, v92, v88
.Ltmp146:
	.loc	2 263 15                        ; standard.py:263:15 @[ standard.py:293:36 @[ attention_bwd.py:19:19 ] ]
	v_fma_mix_f32 v107, v138, v140, v78 op_sel_hi:[1,1,0]
	s_delay_alu instid0(VALU_DEP_3) | instskip(NEXT) | instid1(VALU_DEP_3)
	v_fma_mix_f32 v104, v139, v141, v81 op_sel_hi:[1,1,0]
.Ltmp147:
	.loc	2 293 36                        ; standard.py:293:36 @[ attention_bwd.py:19:19 ]
	v_mov_b32_dpp v78, v86 row_shr:8 row_mask:0xf bank_mask:0xf bound_ctrl:1
	s_delay_alu instid0(VALU_DEP_1)
.Ltmp148:
	.loc	2 263 15                        ; standard.py:263:15 @[ standard.py:293:36 @[ attention_bwd.py:19:19 ] ]
	v_fma_mix_f32 v103, v116, v118, v78 op_sel_hi:[1,1,0]
.Ltmp149:
	.loc	1 13 54                         ; attention_bwd.py:13:54
	v_or_b32_e32 v78, 0x70, v50
	.loc	1 18 97                         ; attention_bwd.py:18:97
	s_waitcnt vmcnt(8)
	v_cvt_f32_f16_e32 v93, v121
	s_waitcnt vmcnt(7)
	v_cvt_f32_f16_e32 v92, v122
	s_delay_alu instid0(VALU_DEP_2) | instskip(SKIP_2) | instid1(VALU_DEP_2)
	.loc	1 19 23                         ; attention_bwd.py:19:23
	v_mul_f32_e32 v88, v94, v93
	s_waitcnt vmcnt(6)
	v_cvt_f32_f16_e32 v93, v119
.Ltmp150:
	.loc	2 293 36                        ; standard.py:293:36 @[ attention_bwd.py:19:19 ]
	v_mov_b32_dpp v81, v88 row_shr:8 row_mask:0xf bank_mask:0xf bound_ctrl:1
	s_delay_alu instid0(VALU_DEP_2)
.Ltmp151:
	.loc	1 19 23                         ; attention_bwd.py:19:23
	v_mul_f32_e32 v86, v93, v92
	.loc	1 18 97                         ; attention_bwd.py:18:97
	s_waitcnt vmcnt(4)
	v_cvt_f32_f16_e32 v88, v123
	.loc	1 19 23                         ; attention_bwd.py:19:23
	v_cvt_f32_f16_e32 v92, v120
.Ltmp152:
	.loc	2 263 15                        ; standard.py:263:15 @[ standard.py:293:36 @[ attention_bwd.py:19:19 ] ]
	v_fma_mix_f32 v118, v117, v121, v81 op_sel_hi:[1,1,0]
.Ltmp153:
	.loc	2 293 36                        ; standard.py:293:36 @[ attention_bwd.py:19:19 ]
	v_mov_b32_dpp v81, v86 row_shr:8 row_mask:0xf bank_mask:0xf bound_ctrl:1
	s_delay_alu instid0(VALU_DEP_3) | instskip(SKIP_1) | instid1(VALU_DEP_3)
.Ltmp154:
	.loc	1 19 23                         ; attention_bwd.py:19:23
	v_mul_f32_e32 v86, v92, v88
	.loc	1 13 41                         ; attention_bwd.py:13:41
	v_or_b32_e32 v92, s9, v78
.Ltmp155:
	.loc	2 263 15                        ; standard.py:263:15 @[ standard.py:293:36 @[ attention_bwd.py:19:19 ] ]
	v_fma_mix_f32 v119, v119, v122, v81 op_sel_hi:[1,1,0]
.Ltmp156:
	.loc	1 13 54                         ; attention_bwd.py:13:54
	v_or_b32_e32 v81, 0x72, v50
	s_delay_alu instid0(VALU_DEP_4) | instskip(NEXT) | instid1(VALU_DEP_4)
.Ltmp157:
	.loc	2 293 36                        ; standard.py:293:36 @[ attention_bwd.py:19:19 ]
	v_mov_b32_dpp v86, v86 row_shr:8 row_mask:0xf bank_mask:0xf bound_ctrl:1
.Ltmp158:
	.loc	1 17 65                         ; attention_bwd.py:17:65
	v_lshlrev_b32_e32 v92, 6, v92
	s_delay_alu instid0(VALU_DEP_2) | instskip(NEXT) | instid1(VALU_DEP_4)
.Ltmp159:
	.loc	2 263 15                        ; standard.py:263:15 @[ standard.py:293:36 @[ attention_bwd.py:19:19 ] ]
	v_fma_mix_f32 v120, v120, v123, v86 op_sel_hi:[1,1,0]
.Ltmp160:
	.loc	1 13 41                         ; attention_bwd.py:13:41
	v_or_b32_e32 v123, s9, v81
	.loc	1 13 54 is_stmt 0               ; attention_bwd.py:13:54
	v_or_b32_e32 v86, 0x74, v50
	.loc	1 18 97 is_stmt 1               ; attention_bwd.py:18:97
	s_waitcnt vmcnt(3)
	v_cvt_f32_f16_e32 v88, v124
	.loc	1 19 23                         ; attention_bwd.py:19:23
	s_waitcnt vmcnt(2)
	v_cvt_f32_f16_e64 v93, v142
	.loc	1 18 97                         ; attention_bwd.py:18:97
	s_waitcnt vmcnt(1)
	v_cvt_f32_f16_e64 v94, v143
	;; [unrolled: 3-line block ×3, first 2 shown]
	v_mul_f32_e32 v88, v93, v88
	.loc	1 17 48                         ; attention_bwd.py:17:48
	v_ashrrev_i32_e32 v93, 31, v92
	s_delay_alu instid0(VALU_DEP_3) | instskip(NEXT) | instid1(VALU_DEP_3)
	.loc	1 19 23                         ; attention_bwd.py:19:23
	v_mul_f32_e32 v94, v116, v94
.Ltmp161:
	.loc	2 293 36                        ; standard.py:293:36 @[ attention_bwd.py:19:19 ]
	v_mov_b32_dpp v88, v88 row_shr:8 row_mask:0xf bank_mask:0xf bound_ctrl:1
	s_delay_alu instid0(VALU_DEP_3) | instskip(NEXT) | instid1(VALU_DEP_3)
.Ltmp162:
	.loc	1 17 48                         ; attention_bwd.py:17:48
	v_lshlrev_b64 v[121:122], 1, v[92:93]
.Ltmp163:
	.loc	2 293 36                        ; standard.py:293:36 @[ attention_bwd.py:19:19 ]
	v_mov_b32_dpp v94, v94 row_shr:8 row_mask:0xf bank_mask:0xf bound_ctrl:1
.Ltmp164:
	.loc	1 17 65                         ; attention_bwd.py:17:65
	v_lshlrev_b32_e32 v92, 6, v123
	s_delay_alu instid0(VALU_DEP_4) | instskip(NEXT) | instid1(VALU_DEP_4)
.Ltmp165:
	.loc	2 263 15                        ; standard.py:263:15 @[ standard.py:293:36 @[ attention_bwd.py:19:19 ] ]
	v_fma_mix_f32 v116, v142, v124, v88 op_sel_hi:[1,1,0]
.Ltmp166:
	.loc	1 17 48                         ; attention_bwd.py:17:48
	v_add_co_u32 v88, vcc_lo, s4, v121
	s_delay_alu instid0(VALU_DEP_4)
.Ltmp167:
	.loc	2 263 15                        ; standard.py:263:15 @[ standard.py:293:36 @[ attention_bwd.py:19:19 ] ]
	v_fma_mix_f32 v117, v144, v143, v94 op_sel_hi:[1,1,0]
.Ltmp168:
	.loc	1 13 41                         ; attention_bwd.py:13:41
	v_or_b32_e32 v94, s9, v86
	.loc	1 17 48                         ; attention_bwd.py:17:48
	v_ashrrev_i32_e32 v93, 31, v92
	v_add_co_ci_u32_e64 v124, null, s5, v122, vcc_lo
	.loc	1 17 76 is_stmt 0               ; attention_bwd.py:17:76
	v_add_co_u32 v123, vcc_lo, v88, v69
	.loc	1 13 54 is_stmt 1               ; attention_bwd.py:13:54
	v_or_b32_e32 v88, 0x76, v50
	.loc	1 17 65                         ; attention_bwd.py:17:65
	v_lshlrev_b32_e32 v125, 6, v94
	.loc	1 17 48 is_stmt 0               ; attention_bwd.py:17:48
	v_lshlrev_b64 v[127:128], 1, v[92:93]
	.loc	1 17 76                         ; attention_bwd.py:17:76
	v_add_co_ci_u32_e64 v124, null, 0, v124, vcc_lo
	s_delay_alu instid0(VALU_DEP_4) | instskip(NEXT) | instid1(VALU_DEP_4)
	.loc	1 13 41 is_stmt 1               ; attention_bwd.py:13:41
	v_or_b32_e32 v92, s9, v88
	.loc	1 17 48                         ; attention_bwd.py:17:48
	v_ashrrev_i32_e32 v126, 31, v125
	s_delay_alu instid0(VALU_DEP_4) | instskip(NEXT) | instid1(VALU_DEP_3)
	v_add_co_u32 v93, vcc_lo, s4, v127
	.loc	1 17 65 is_stmt 0               ; attention_bwd.py:17:65
	v_lshlrev_b32_e32 v92, 6, v92
	s_delay_alu instid0(VALU_DEP_3) | instskip(SKIP_1) | instid1(VALU_DEP_4)
	.loc	1 17 48                         ; attention_bwd.py:17:48
	v_lshlrev_b64 v[125:126], 1, v[125:126]
	v_add_co_ci_u32_e64 v94, null, s5, v128, vcc_lo
	.loc	1 17 76                         ; attention_bwd.py:17:76
	v_add_co_u32 v129, vcc_lo, v93, v69
	s_delay_alu instid0(VALU_DEP_4) | instskip(NEXT) | instid1(VALU_DEP_3)
	.loc	1 17 48                         ; attention_bwd.py:17:48
	v_ashrrev_i32_e32 v93, 31, v92
	.loc	1 17 76                         ; attention_bwd.py:17:76
	v_add_co_ci_u32_e64 v130, null, 0, v94, vcc_lo
	.loc	1 17 48                         ; attention_bwd.py:17:48
	v_add_co_u32 v94, vcc_lo, s4, v125
	s_delay_alu instid0(VALU_DEP_3) | instskip(SKIP_1) | instid1(VALU_DEP_3)
	v_lshlrev_b64 v[132:133], 1, v[92:93]
	v_add_co_ci_u32_e64 v131, null, s5, v126, vcc_lo
	.loc	1 17 76                         ; attention_bwd.py:17:76
	v_add_co_u32 v134, vcc_lo, v94, v69
	s_delay_alu instid0(VALU_DEP_1) | instskip(NEXT) | instid1(VALU_DEP_4)
	v_add_co_ci_u32_e64 v135, null, 0, v131, vcc_lo
	.loc	1 17 48                         ; attention_bwd.py:17:48
	v_add_co_u32 v92, vcc_lo, s4, v132
	s_delay_alu instid0(VALU_DEP_1) | instskip(NEXT) | instid1(VALU_DEP_2)
	v_add_co_ci_u32_e64 v93, null, s5, v133, vcc_lo
	.loc	1 17 76                         ; attention_bwd.py:17:76
	v_add_co_u32 v136, vcc_lo, v92, v69
	s_delay_alu instid0(VALU_DEP_1) | instskip(SKIP_1) | instid1(VALU_DEP_1)
	v_add_co_ci_u32_e64 v137, null, 0, v93, vcc_lo
	.loc	1 13 54 is_stmt 1               ; attention_bwd.py:13:54
	v_or_b32_e32 v93, 0x78, v50
	.loc	1 13 41 is_stmt 0               ; attention_bwd.py:13:41
	v_or_b32_e32 v92, s9, v93
	s_delay_alu instid0(VALU_DEP_1) | instskip(NEXT) | instid1(VALU_DEP_1)
	.loc	1 17 65 is_stmt 1               ; attention_bwd.py:17:65
	v_lshlrev_b32_e32 v138, 6, v92
	.loc	1 17 48 is_stmt 0               ; attention_bwd.py:17:48
	v_ashrrev_i32_e32 v139, 31, v138
	s_delay_alu instid0(VALU_DEP_1) | instskip(NEXT) | instid1(VALU_DEP_1)
	v_lshlrev_b64 v[138:139], 1, v[138:139]
	v_add_co_u32 v92, vcc_lo, s4, v138
	s_delay_alu instid0(VALU_DEP_1) | instskip(NEXT) | instid1(VALU_DEP_2)
	v_add_co_ci_u32_e64 v94, null, s5, v139, vcc_lo
	.loc	1 17 76                         ; attention_bwd.py:17:76
	v_add_co_u32 v140, vcc_lo, v92, v69
	s_delay_alu instid0(VALU_DEP_1) | instskip(SKIP_1) | instid1(VALU_DEP_1)
	v_add_co_ci_u32_e64 v141, null, 0, v94, vcc_lo
	.loc	1 13 54 is_stmt 1               ; attention_bwd.py:13:54
	v_or_b32_e32 v94, 0x7a, v50
	.loc	1 13 41 is_stmt 0               ; attention_bwd.py:13:41
	v_or_b32_e32 v92, s9, v94
	s_delay_alu instid0(VALU_DEP_1) | instskip(NEXT) | instid1(VALU_DEP_1)
	.loc	1 17 65 is_stmt 1               ; attention_bwd.py:17:65
	v_lshlrev_b32_e32 v142, 6, v92
	.loc	1 17 48 is_stmt 0               ; attention_bwd.py:17:48
	v_ashrrev_i32_e32 v143, 31, v142
	s_delay_alu instid0(VALU_DEP_1) | instskip(NEXT) | instid1(VALU_DEP_1)
	v_lshlrev_b64 v[142:143], 1, v[142:143]
	v_add_co_u32 v92, vcc_lo, s4, v142
	s_delay_alu instid0(VALU_DEP_1) | instskip(NEXT) | instid1(VALU_DEP_2)
	v_add_co_ci_u32_e64 v131, null, s5, v143, vcc_lo
	.loc	1 17 76                         ; attention_bwd.py:17:76
	v_add_co_u32 v144, vcc_lo, v92, v69
	.loc	1 13 54 is_stmt 1               ; attention_bwd.py:13:54
	v_or_b32_e32 v92, 0x7c, v50
	s_delay_alu instid0(VALU_DEP_3) | instskip(SKIP_1) | instid1(VALU_DEP_3)
	.loc	1 17 76                         ; attention_bwd.py:17:76
	v_add_co_ci_u32_e64 v145, null, 0, v131, vcc_lo
	.loc	1 13 54                         ; attention_bwd.py:13:54
	v_or_b32_e32 v50, 0x7e, v50
	.loc	1 13 41 is_stmt 0               ; attention_bwd.py:13:41
	v_or_b32_e32 v131, s9, v92
	s_delay_alu instid0(VALU_DEP_1) | instskip(NEXT) | instid1(VALU_DEP_1)
	.loc	1 17 65 is_stmt 1               ; attention_bwd.py:17:65
	v_lshlrev_b32_e32 v146, 6, v131
	.loc	1 17 48 is_stmt 0               ; attention_bwd.py:17:48
	v_ashrrev_i32_e32 v147, 31, v146
	s_delay_alu instid0(VALU_DEP_1) | instskip(NEXT) | instid1(VALU_DEP_1)
	v_lshlrev_b64 v[146:147], 1, v[146:147]
	v_add_co_u32 v131, vcc_lo, s4, v146
	s_delay_alu instid0(VALU_DEP_1) | instskip(NEXT) | instid1(VALU_DEP_2)
	v_add_co_ci_u32_e64 v149, null, s5, v147, vcc_lo
	.loc	1 17 76                         ; attention_bwd.py:17:76
	v_add_co_u32 v148, vcc_lo, v131, v69
	s_delay_alu instid0(VALU_DEP_1)
	v_add_co_ci_u32_e64 v149, null, 0, v149, vcc_lo
	.loc	1 18 50 is_stmt 1               ; attention_bwd.py:18:50
	v_add_co_u32 v121, vcc_lo, s6, v121
	.loc	1 17 16                         ; attention_bwd.py:17:16
	s_clause 0x2
	global_load_u16 v131, v[123:124], off
	global_load_u16 v129, v[129:130], off
	;; [unrolled: 1-line block ×3, first 2 shown]
	.loc	1 18 50                         ; attention_bwd.py:18:50
	v_add_co_ci_u32_e64 v122, null, s3, v122, vcc_lo
	v_add_co_u32 v123, vcc_lo, s6, v127
	s_delay_alu instid0(VALU_DEP_1) | instskip(SKIP_1) | instid1(VALU_DEP_1)
	v_add_co_ci_u32_e64 v124, null, s3, v128, vcc_lo
	v_add_co_u32 v125, vcc_lo, s6, v125
	v_add_co_ci_u32_e64 v126, null, s3, v126, vcc_lo
	v_add_co_u32 v127, vcc_lo, s6, v132
	s_delay_alu instid0(VALU_DEP_1) | instskip(SKIP_1) | instid1(VALU_DEP_1)
	v_add_co_ci_u32_e64 v128, null, s3, v133, vcc_lo
	v_add_co_u32 v132, vcc_lo, s6, v138
	v_add_co_ci_u32_e64 v135, null, s3, v139, vcc_lo
	v_add_co_u32 v142, vcc_lo, s6, v142
	s_delay_alu instid0(VALU_DEP_1) | instskip(SKIP_1) | instid1(VALU_DEP_1)
	v_add_co_ci_u32_e64 v143, null, s3, v143, vcc_lo
	v_add_co_u32 v146, vcc_lo, s6, v146
	v_add_co_ci_u32_e64 v147, null, s3, v147, vcc_lo
	.loc	1 18 78 is_stmt 0               ; attention_bwd.py:18:78
	v_add_co_u32 v121, vcc_lo, v121, v69
	s_delay_alu instid0(VALU_DEP_1) | instskip(SKIP_1) | instid1(VALU_DEP_1)
	v_add_co_ci_u32_e64 v122, null, 0, v122, vcc_lo
	v_add_co_u32 v123, vcc_lo, v123, v69
	v_add_co_ci_u32_e64 v124, null, 0, v124, vcc_lo
	.loc	1 18 17                         ; attention_bwd.py:18:17
	global_load_u16 v133, v[121:122], off
	.loc	1 18 78                         ; attention_bwd.py:18:78
	v_add_co_u32 v125, vcc_lo, v125, v69
	s_delay_alu instid0(VALU_DEP_1) | instskip(SKIP_2) | instid1(VALU_DEP_1)
	v_add_co_ci_u32_e64 v126, null, 0, v126, vcc_lo
	.loc	1 18 17                         ; attention_bwd.py:18:17
	global_load_u16 v134, v[123:124], off
	.loc	1 18 78                         ; attention_bwd.py:18:78
	v_add_co_u32 v121, vcc_lo, v127, v69
	v_add_co_ci_u32_e64 v122, null, 0, v128, vcc_lo
	v_add_co_u32 v138, vcc_lo, v132, v69
	s_delay_alu instid0(VALU_DEP_1) | instskip(SKIP_2) | instid1(VALU_DEP_1)
	v_add_co_ci_u32_e64 v139, null, 0, v135, vcc_lo
	.loc	1 18 17                         ; attention_bwd.py:18:17
	global_load_u16 v135, v[125:126], off
	.loc	1 18 78                         ; attention_bwd.py:18:78
	v_add_co_u32 v142, vcc_lo, v142, v69
	v_add_co_ci_u32_e64 v143, null, 0, v143, vcc_lo
	v_add_co_u32 v146, vcc_lo, v146, v69
	s_delay_alu instid0(VALU_DEP_1)
	v_add_co_ci_u32_e64 v147, null, 0, v147, vcc_lo
	.loc	1 18 17                         ; attention_bwd.py:18:17
	global_load_u16 v127, v[121:122], off
	.loc	1 17 16 is_stmt 1               ; attention_bwd.py:17:16
	s_clause 0x3
	global_load_u16 v128, v[136:137], off
	global_load_u16 v122, v[140:141], off
	;; [unrolled: 1-line block ×4, first 2 shown]
	.loc	1 18 17                         ; attention_bwd.py:18:17
	s_clause 0x2
	global_load_u16 v125, v[138:139], off
	global_load_u16 v126, v[142:143], off
	;; [unrolled: 1-line block ×3, first 2 shown]
	.loc	1 13 41                         ; attention_bwd.py:13:41
	v_or_b32_e32 v132, s9, v50
	s_delay_alu instid0(VALU_DEP_1) | instskip(NEXT) | instid1(VALU_DEP_1)
	.loc	1 17 65                         ; attention_bwd.py:17:65
	v_lshlrev_b32_e32 v136, 6, v132
	.loc	1 17 48 is_stmt 0               ; attention_bwd.py:17:48
	v_ashrrev_i32_e32 v137, 31, v136
	s_delay_alu instid0(VALU_DEP_1) | instskip(NEXT) | instid1(VALU_DEP_1)
	v_lshlrev_b64 v[136:137], 1, v[136:137]
	.loc	1 18 50 is_stmt 1               ; attention_bwd.py:18:50
	v_add_co_u32 v132, vcc_lo, s6, v136
	s_delay_alu instid0(VALU_DEP_1) | instskip(SKIP_1) | instid1(VALU_DEP_1)
	v_add_co_ci_u32_e64 v138, null, s3, v137, vcc_lo
	.loc	1 17 48                         ; attention_bwd.py:17:48
	v_add_co_u32 v139, vcc_lo, s4, v136
	v_add_co_ci_u32_e64 v140, null, s5, v137, vcc_lo
	s_delay_alu instid0(VALU_DEP_4) | instskip(NEXT) | instid1(VALU_DEP_1)
	.loc	1 18 78                         ; attention_bwd.py:18:78
	v_add_co_u32 v136, vcc_lo, v132, v69
	v_add_co_ci_u32_e64 v137, null, 0, v138, vcc_lo
	s_delay_alu instid0(VALU_DEP_4) | instskip(NEXT) | instid1(VALU_DEP_1)
	.loc	1 17 76                         ; attention_bwd.py:17:76
	v_add_co_u32 v138, vcc_lo, v139, v69
	v_add_co_ci_u32_e64 v139, null, 0, v140, vcc_lo
	.loc	1 18 17                         ; attention_bwd.py:18:17
	global_load_u16 v69, v[136:137], off
	.loc	1 17 16                         ; attention_bwd.py:17:16
	global_load_u16 v132, v[138:139], off
	.loc	1 19 23                         ; attention_bwd.py:19:23
	s_waitcnt vmcnt(15)
	v_cvt_f32_f16_e64 v137, v131
	.loc	1 18 97                         ; attention_bwd.py:18:97
	s_waitcnt vmcnt(12)
	v_cvt_f32_f16_e64 v136, v133
	s_delay_alu instid0(VALU_DEP_1) | instskip(SKIP_3) | instid1(VALU_DEP_1)
	.loc	1 19 23                         ; attention_bwd.py:19:23
	v_mul_f32_e32 v142, v137, v136
	.loc	1 18 97                         ; attention_bwd.py:18:97
	s_waitcnt vmcnt(11)
	v_cvt_f32_f16_e64 v136, v134
	.loc	1 19 23                         ; attention_bwd.py:19:23
	v_cvt_f32_f16_e64 v137, v129
	v_mul_f32_e32 v141, v137, v136
	v_cvt_f32_f16_e64 v137, v130
	.loc	1 18 97                         ; attention_bwd.py:18:97
	s_waitcnt vmcnt(10)
	v_cvt_f32_f16_e64 v136, v135
	s_delay_alu instid0(VALU_DEP_1)
	.loc	1 19 23                         ; attention_bwd.py:19:23
	v_mul_f32_e32 v140, v137, v136
	.loc	1 18 97                         ; attention_bwd.py:18:97
	s_waitcnt vmcnt(9)
	v_cvt_f32_f16_e64 v136, v127
	.loc	1 19 23                         ; attention_bwd.py:19:23
	s_waitcnt vmcnt(8)
	v_cvt_f32_f16_e64 v137, v128
	s_waitcnt vmcnt(5)
	v_cvt_f32_f16_e64 v143, v121
	s_delay_alu instid0(VALU_DEP_2) | instskip(SKIP_3) | instid1(VALU_DEP_1)
	v_mul_f32_e32 v139, v137, v136
	.loc	1 18 97                         ; attention_bwd.py:18:97
	s_waitcnt vmcnt(4)
	v_cvt_f32_f16_e64 v136, v125
	.loc	1 19 23                         ; attention_bwd.py:19:23
	v_cvt_f32_f16_e64 v137, v122
	v_mul_f32_e32 v138, v137, v136
	.loc	1 18 97                         ; attention_bwd.py:18:97
	s_waitcnt vmcnt(3)
	v_cvt_f32_f16_e64 v136, v126
	.loc	1 19 23                         ; attention_bwd.py:19:23
	v_cvt_f32_f16_e64 v137, v123
	s_delay_alu instid0(VALU_DEP_1) | instskip(SKIP_2) | instid1(VALU_DEP_1)
	v_mul_f32_e32 v137, v137, v136
	.loc	1 18 97                         ; attention_bwd.py:18:97
	s_waitcnt vmcnt(2)
	v_cvt_f32_f16_e64 v136, v124
	.loc	1 19 23                         ; attention_bwd.py:19:23
	v_mul_f32_e32 v136, v143, v136
.Ltmp169:
	.loc	2 293 36                        ; standard.py:293:36 @[ attention_bwd.py:19:19 ]
	v_permlanex16_b32 v143, v99, -1, -1 op_sel:[1,0]
	s_delay_alu instid0(VALU_DEP_1) | instskip(NEXT) | instid1(VALU_DEP_1)
.Ltmp170:
	.loc	2 263 15                        ; standard.py:263:15 @[ standard.py:293:36 @[ attention_bwd.py:19:19 ] ]
	v_add_f32_e32 v143, v99, v143
.Ltmp171:
	.loc	2 293 36                        ; standard.py:293:36 @[ attention_bwd.py:19:19 ]
	v_readlane_b32 s45, v143, 31
	v_permlanex16_b32 v143, v98, -1, -1 op_sel:[1,0]
.Ltmp172:
	.loc	1 18 97                         ; attention_bwd.py:18:97
	s_waitcnt vmcnt(1)
	v_cvt_f32_f16_e32 v99, v69
	s_delay_alu instid0(VALU_DEP_2) | instskip(SKIP_3) | instid1(VALU_DEP_3)
.Ltmp173:
	.loc	2 263 15                        ; standard.py:263:15 @[ standard.py:293:36 @[ attention_bwd.py:19:19 ] ]
	v_add_f32_e32 v98, v98, v143
.Ltmp174:
	.loc	2 293 36                        ; standard.py:293:36 @[ attention_bwd.py:19:19 ]
	v_permlanex16_b32 v143, v96, -1, -1 op_sel:[1,0]
.Ltmp175:
	.loc	1 19 23                         ; attention_bwd.py:19:23
	s_waitcnt vmcnt(0)
	v_cvt_f32_f16_e64 v144, v132
.Ltmp176:
	.loc	2 293 36                        ; standard.py:293:36 @[ attention_bwd.py:19:19 ]
	v_readlane_b32 s66, v98, 31
	s_delay_alu instid0(VALU_DEP_3) | instskip(SKIP_1) | instid1(VALU_DEP_4)
.Ltmp177:
	.loc	2 263 15                        ; standard.py:263:15 @[ standard.py:293:36 @[ attention_bwd.py:19:19 ] ]
	v_add_f32_e32 v96, v96, v143
.Ltmp178:
	.loc	2 293 36                        ; standard.py:293:36 @[ attention_bwd.py:19:19 ]
	v_permlanex16_b32 v143, v95, -1, -1 op_sel:[1,0]
.Ltmp179:
	.loc	1 19 23                         ; attention_bwd.py:19:23
	v_mul_f32_e32 v99, v144, v99
	s_delay_alu instid0(VALU_DEP_3) | instskip(NEXT) | instid1(VALU_DEP_3)
.Ltmp180:
	.loc	2 293 36                        ; standard.py:293:36 @[ attention_bwd.py:19:19 ]
	v_readlane_b32 s62, v96, 31
.Ltmp181:
	.loc	2 263 15                        ; standard.py:263:15 @[ standard.py:293:36 @[ attention_bwd.py:19:19 ] ]
	v_add_f32_e32 v95, v95, v143
.Ltmp182:
	.loc	2 293 36                        ; standard.py:293:36 @[ attention_bwd.py:19:19 ]
	v_permlanex16_b32 v143, v91, -1, -1 op_sel:[1,0]
	s_delay_alu instid0(VALU_DEP_2) | instskip(NEXT) | instid1(VALU_DEP_2)
	v_readlane_b32 s58, v95, 31
.Ltmp183:
	.loc	2 263 15                        ; standard.py:263:15 @[ standard.py:293:36 @[ attention_bwd.py:19:19 ] ]
	v_add_f32_e32 v91, v91, v143
.Ltmp184:
	.loc	2 293 36                        ; standard.py:293:36 @[ attention_bwd.py:19:19 ]
	v_permlanex16_b32 v143, v90, -1, -1 op_sel:[1,0]
	s_delay_alu instid0(VALU_DEP_1) | instskip(NEXT) | instid1(VALU_DEP_1)
.Ltmp185:
	.loc	2 263 15                        ; standard.py:263:15 @[ standard.py:293:36 @[ attention_bwd.py:19:19 ] ]
	v_add_f32_e32 v90, v90, v143
.Ltmp186:
	.loc	2 293 36                        ; standard.py:293:36 @[ attention_bwd.py:19:19 ]
	v_readlane_b32 s47, v90, 31
	v_permlanex16_b32 v90, v87, -1, -1 op_sel:[1,0]
	s_delay_alu instid0(VALU_DEP_1) | instskip(SKIP_1) | instid1(VALU_DEP_1)
.Ltmp187:
	.loc	2 263 15                        ; standard.py:263:15 @[ standard.py:293:36 @[ attention_bwd.py:19:19 ] ]
	v_add_f32_e32 v87, v87, v90
.Ltmp188:
	.loc	2 293 36                        ; standard.py:293:36 @[ attention_bwd.py:19:19 ]
	v_permlanex16_b32 v90, v85, -1, -1 op_sel:[1,0]
.Ltmp189:
	.loc	2 263 15                        ; standard.py:263:15 @[ standard.py:293:36 @[ attention_bwd.py:19:19 ] ]
	v_add_f32_e32 v85, v85, v90
.Ltmp190:
	.loc	2 293 36                        ; standard.py:293:36 @[ attention_bwd.py:19:19 ]
	v_permlanex16_b32 v90, v83, -1, -1 op_sel:[1,0]
	s_delay_alu instid0(VALU_DEP_1) | instskip(SKIP_1) | instid1(VALU_DEP_1)
.Ltmp191:
	.loc	2 263 15                        ; standard.py:263:15 @[ standard.py:293:36 @[ attention_bwd.py:19:19 ] ]
	v_add_f32_e32 v83, v83, v90
.Ltmp192:
	.loc	2 293 36                        ; standard.py:293:36 @[ attention_bwd.py:19:19 ]
	v_permlanex16_b32 v90, v84, -1, -1 op_sel:[1,0]
.Ltmp193:
	.loc	2 263 15                        ; standard.py:263:15 @[ standard.py:293:36 @[ attention_bwd.py:19:19 ] ]
	v_add_f32_e32 v84, v84, v90
.Ltmp194:
	.loc	2 293 36                        ; standard.py:293:36 @[ attention_bwd.py:19:19 ]
	v_permlanex16_b32 v90, v82, -1, -1 op_sel:[1,0]
	s_delay_alu instid0(VALU_DEP_2) | instskip(NEXT) | instid1(VALU_DEP_2)
	v_readlane_b32 s55, v84, 31
.Ltmp195:
	.loc	2 263 15                        ; standard.py:263:15 @[ standard.py:293:36 @[ attention_bwd.py:19:19 ] ]
	v_add_f32_e32 v82, v82, v90
	s_delay_alu instid0(VALU_DEP_1) | instskip(SKIP_1) | instid1(VALU_DEP_1)
.Ltmp196:
	.loc	2 293 36                        ; standard.py:293:36 @[ attention_bwd.py:19:19 ]
	v_readlane_b32 s49, v82, 31
	v_permlanex16_b32 v82, v79, -1, -1 op_sel:[1,0]
.Ltmp197:
	.loc	2 263 15                        ; standard.py:263:15 @[ standard.py:293:36 @[ attention_bwd.py:19:19 ] ]
	v_add_f32_e32 v79, v79, v82
.Ltmp198:
	.loc	2 293 36                        ; standard.py:293:36 @[ attention_bwd.py:19:19 ]
	v_permlanex16_b32 v82, v80, -1, -1 op_sel:[1,0]
	s_delay_alu instid0(VALU_DEP_1) | instskip(SKIP_1) | instid1(VALU_DEP_2)
.Ltmp199:
	.loc	2 263 15                        ; standard.py:263:15 @[ standard.py:293:36 @[ attention_bwd.py:19:19 ] ]
	v_add_f32_e32 v80, v80, v82
.Ltmp200:
	.loc	2 293 36                        ; standard.py:293:36 @[ attention_bwd.py:19:19 ]
	v_permlanex16_b32 v82, v42, -1, -1 op_sel:[1,0]
	v_readlane_b32 s65, v80, 31
	s_delay_alu instid0(VALU_DEP_2) | instskip(SKIP_2) | instid1(VALU_DEP_3)
.Ltmp201:
	.loc	2 263 15                        ; standard.py:263:15 @[ standard.py:293:36 @[ attention_bwd.py:19:19 ] ]
	v_add_f32_e32 v42, v42, v82
.Ltmp202:
	.loc	2 293 36                        ; standard.py:293:36 @[ attention_bwd.py:19:19 ]
	v_permlanex16_b32 v82, v43, -1, -1 op_sel:[1,0]
	v_permlanex16_b32 v80, v38, -1, -1 op_sel:[1,0]
	v_readlane_b32 s61, v42, 31
	s_delay_alu instid0(VALU_DEP_3) | instskip(SKIP_1) | instid1(VALU_DEP_4)
.Ltmp203:
	.loc	2 263 15                        ; standard.py:263:15 @[ standard.py:293:36 @[ attention_bwd.py:19:19 ] ]
	v_add_f32_e32 v43, v43, v82
.Ltmp204:
	.loc	2 293 36                        ; standard.py:293:36 @[ attention_bwd.py:19:19 ]
	v_permlanex16_b32 v82, v40, -1, -1 op_sel:[1,0]
.Ltmp205:
	.loc	2 263 15                        ; standard.py:263:15 @[ standard.py:293:36 @[ attention_bwd.py:19:19 ] ]
	v_add_f32_e32 v38, v38, v80
.Ltmp206:
	.loc	2 293 36                        ; standard.py:293:36 @[ attention_bwd.py:19:19 ]
	v_permlanex16_b32 v42, v39, -1, -1 op_sel:[1,0]
	v_readlane_b32 s53, v91, 31
	v_readlane_b32 s56, v43, 31
.Ltmp207:
	.loc	2 263 15                        ; standard.py:263:15 @[ standard.py:293:36 @[ attention_bwd.py:19:19 ] ]
	v_add_f32_e32 v40, v40, v82
.Ltmp208:
	.loc	2 293 36                        ; standard.py:293:36 @[ attention_bwd.py:19:19 ]
	v_readlane_b32 s42, v38, 31
	v_permlanex16_b32 v38, v28, -1, -1 op_sel:[1,0]
	v_permlanex16_b32 v43, v36, -1, -1 op_sel:[1,0]
	s_delay_alu instid0(VALU_DEP_4) | instskip(SKIP_1) | instid1(VALU_DEP_4)
	v_readlane_b32 s50, v40, 31
	v_permlanex16_b32 v40, v37, -1, -1 op_sel:[1,0]
.Ltmp209:
	.loc	2 263 15                        ; standard.py:263:15 @[ standard.py:293:36 @[ attention_bwd.py:19:19 ] ]
	v_add_f32_e32 v28, v28, v38
	s_delay_alu instid0(VALU_DEP_2) | instskip(NEXT) | instid1(VALU_DEP_2)
	v_dual_add_f32 v36, v36, v43 :: v_dual_add_f32 v37, v37, v40
.Ltmp210:
	.loc	2 293 36                        ; standard.py:293:36 @[ attention_bwd.py:19:19 ]
	v_readlane_b32 s41, v28, 31
.Ltmp211:
	.loc	2 263 15                        ; standard.py:263:15 @[ standard.py:293:36 @[ attention_bwd.py:19:19 ] ]
	v_add_f32_dpp v28, v35, v35 row_shr:4 row_mask:0xf bank_mask:0xf bound_ctrl:1
	s_delay_alu instid0(VALU_DEP_3) | instskip(SKIP_4) | instid1(VALU_DEP_2)
.Ltmp212:
	.loc	2 293 36                        ; standard.py:293:36 @[ attention_bwd.py:19:19 ]
	v_readlane_b32 s54, v36, 31
	v_permlanex16_b32 v36, v29, -1, -1 op_sel:[1,0]
	v_readlane_b32 s63, v37, 31
	v_permlanex16_b32 v37, v30, -1, -1 op_sel:[1,0]
.Ltmp213:
	.loc	2 263 15                        ; standard.py:263:15 @[ standard.py:293:36 @[ attention_bwd.py:19:19 ] ]
	v_add_f32_dpp v28, v28, v28 row_shr:2 row_mask:0xf bank_mask:0xf bound_ctrl:1
	v_add_f32_e32 v30, v30, v37
	s_delay_alu instid0(VALU_DEP_2) | instskip(SKIP_1) | instid1(VALU_DEP_3)
	v_add_f32_dpp v28, v28, v28 row_shr:1 row_mask:0xf bank_mask:0xf bound_ctrl:1
.Ltmp214:
	.loc	2 293 36                        ; standard.py:293:36 @[ attention_bwd.py:19:19 ]
	v_readlane_b32 s67, v87, 31
	v_readlane_b32 s46, v30, 31
.Ltmp215:
	.loc	2 263 15                        ; standard.py:263:15 @[ standard.py:293:36 @[ attention_bwd.py:19:19 ] ]
	v_add_f32_dpp v30, v44, v44 row_shr:4 row_mask:0xf bank_mask:0xf bound_ctrl:1
	s_delay_alu instid0(VALU_DEP_1) | instskip(NEXT) | instid1(VALU_DEP_1)
	v_add_f32_dpp v30, v30, v30 row_shr:2 row_mask:0xf bank_mask:0xf bound_ctrl:1
	v_add_f32_dpp v30, v30, v30 row_shr:1 row_mask:0xf bank_mask:0xf bound_ctrl:1
	s_delay_alu instid0(VALU_DEP_1) | instskip(NEXT) | instid1(VALU_DEP_1)
.Ltmp216:
	.loc	2 293 36                        ; standard.py:293:36 @[ attention_bwd.py:19:19 ]
	v_permlanex16_b32 v35, v30, -1, -1 op_sel:[1,0]
.Ltmp217:
	.loc	2 263 15                        ; standard.py:263:15 @[ standard.py:293:36 @[ attention_bwd.py:19:19 ] ]
	v_add_f32_e32 v30, v30, v35
.Ltmp218:
	.loc	2 293 36                        ; standard.py:293:36 @[ attention_bwd.py:19:19 ]
	v_readlane_b32 s68, v79, 31
	v_permlanex16_b32 v79, v34, -1, -1 op_sel:[1,0]
	s_delay_alu instid0(VALU_DEP_3) | instskip(SKIP_1) | instid1(VALU_DEP_3)
	v_readlane_b32 s34, v30, 31
.Ltmp219:
	.loc	2 263 15                        ; standard.py:263:15 @[ standard.py:293:36 @[ attention_bwd.py:19:19 ] ]
	v_add_f32_dpp v30, v97, v97 row_shr:4 row_mask:0xf bank_mask:0xf bound_ctrl:1
	v_add_f32_e32 v34, v34, v79
	s_delay_alu instid0(VALU_DEP_2) | instskip(NEXT) | instid1(VALU_DEP_2)
	v_add_f32_dpp v30, v30, v30 row_shr:2 row_mask:0xf bank_mask:0xf bound_ctrl:1
.Ltmp220:
	.loc	2 293 36                        ; standard.py:293:36 @[ attention_bwd.py:19:19 ]
	v_readlane_b32 s48, v34, 31
	v_permlanex16_b32 v34, v31, -1, -1 op_sel:[1,0]
	s_delay_alu instid0(VALU_DEP_3) | instskip(NEXT) | instid1(VALU_DEP_1)
.Ltmp221:
	.loc	2 263 15                        ; standard.py:263:15 @[ standard.py:293:36 @[ attention_bwd.py:19:19 ] ]
	v_add_f32_dpp v30, v30, v30 row_shr:1 row_mask:0xf bank_mask:0xf bound_ctrl:1
.Ltmp222:
	.loc	2 293 36                        ; standard.py:293:36 @[ attention_bwd.py:19:19 ]
	v_permlanex16_b32 v35, v30, -1, -1 op_sel:[1,0]
	s_delay_alu instid0(VALU_DEP_1) | instskip(NEXT) | instid1(VALU_DEP_1)
.Ltmp223:
	.loc	2 263 15                        ; standard.py:263:15 @[ standard.py:293:36 @[ attention_bwd.py:19:19 ] ]
	v_dual_add_f32 v39, v39, v42 :: v_dual_add_f32 v30, v30, v35
.Ltmp224:
	.loc	2 293 36                        ; standard.py:293:36 @[ attention_bwd.py:19:19 ]
	v_readlane_b32 s59, v39, 31
	v_permlanex16_b32 v39, v32, -1, -1 op_sel:[1,0]
	s_delay_alu instid0(VALU_DEP_3) | instskip(SKIP_1) | instid1(VALU_DEP_3)
	v_readlane_b32 s25, v30, 31
.Ltmp225:
	.loc	2 263 15                        ; standard.py:263:15 @[ standard.py:293:36 @[ attention_bwd.py:19:19 ] ]
	v_add_f32_dpp v30, v114, v114 row_shr:4 row_mask:0xf bank_mask:0xf bound_ctrl:1
	v_add_f32_e32 v32, v32, v39
.Ltmp226:
	.loc	2 293 36                        ; standard.py:293:36 @[ attention_bwd.py:19:19 ]
	v_readlane_b32 s64, v85, 31
	s_delay_alu instid0(VALU_DEP_3) | instskip(NEXT) | instid1(VALU_DEP_3)
.Ltmp227:
	.loc	2 263 15                        ; standard.py:263:15 @[ standard.py:293:36 @[ attention_bwd.py:19:19 ] ]
	v_add_f32_dpp v30, v30, v30 row_shr:2 row_mask:0xf bank_mask:0xf bound_ctrl:1
.Ltmp228:
	.loc	2 293 36                        ; standard.py:293:36 @[ attention_bwd.py:19:19 ]
	v_readlane_b32 s36, v32, 31
	v_permlanex16_b32 v32, v27, -1, -1 op_sel:[1,0]
	s_delay_alu instid0(VALU_DEP_3) | instskip(NEXT) | instid1(VALU_DEP_1)
.Ltmp229:
	.loc	2 263 15                        ; standard.py:263:15 @[ standard.py:293:36 @[ attention_bwd.py:19:19 ] ]
	v_add_f32_dpp v30, v30, v30 row_shr:1 row_mask:0xf bank_mask:0xf bound_ctrl:1
.Ltmp230:
	.loc	2 293 36                        ; standard.py:293:36 @[ attention_bwd.py:19:19 ]
	v_permlanex16_b32 v35, v30, -1, -1 op_sel:[1,0]
	s_delay_alu instid0(VALU_DEP_1) | instskip(NEXT) | instid1(VALU_DEP_1)
.Ltmp231:
	.loc	2 263 15                        ; standard.py:263:15 @[ standard.py:293:36 @[ attention_bwd.py:19:19 ] ]
	v_dual_add_f32 v29, v29, v36 :: v_dual_add_f32 v30, v30, v35
.Ltmp232:
	.loc	2 293 36                        ; standard.py:293:36 @[ attention_bwd.py:19:19 ]
	v_readlane_b32 s52, v29, 31
.Ltmp233:
	.loc	2 263 15                        ; standard.py:263:15 @[ standard.py:293:36 @[ attention_bwd.py:19:19 ] ]
	v_add_f32_dpp v29, v33, v33 row_shr:4 row_mask:0xf bank_mask:0xf bound_ctrl:1
.Ltmp234:
	.loc	2 293 36                        ; standard.py:293:36 @[ attention_bwd.py:19:19 ]
	v_permlanex16_b32 v33, v28, -1, -1 op_sel:[1,0]
	s_delay_alu instid0(VALU_DEP_4) | instskip(SKIP_1) | instid1(VALU_DEP_4)
	v_readlane_b32 s17, v30, 31
.Ltmp235:
	.loc	2 263 15                        ; standard.py:263:15 @[ standard.py:293:36 @[ attention_bwd.py:19:19 ] ]
	v_add_f32_dpp v30, v110, v110 row_shr:4 row_mask:0xf bank_mask:0xf bound_ctrl:1
	v_add_f32_dpp v29, v29, v29 row_shr:2 row_mask:0xf bank_mask:0xf bound_ctrl:1
	s_delay_alu instid0(VALU_DEP_4) | instskip(SKIP_1) | instid1(VALU_DEP_4)
	v_add_f32_e32 v28, v28, v33
.Ltmp236:
	.loc	2 293 36                        ; standard.py:293:36 @[ attention_bwd.py:19:19 ]
	v_readlane_b32 s60, v83, 31
.Ltmp237:
	.loc	2 263 15                        ; standard.py:263:15 @[ standard.py:293:36 @[ attention_bwd.py:19:19 ] ]
	v_add_f32_dpp v30, v30, v30 row_shr:2 row_mask:0xf bank_mask:0xf bound_ctrl:1
	s_delay_alu instid0(VALU_DEP_4) | instskip(NEXT) | instid1(VALU_DEP_4)
	v_add_f32_dpp v29, v29, v29 row_shr:1 row_mask:0xf bank_mask:0xf bound_ctrl:1
.Ltmp238:
	.loc	2 293 36                        ; standard.py:293:36 @[ attention_bwd.py:19:19 ]
	v_readlane_b32 s44, v28, 31
.Ltmp239:
	.loc	2 263 15                        ; standard.py:263:15 @[ standard.py:293:36 @[ attention_bwd.py:19:19 ] ]
	v_add_f32_dpp v28, v46, v46 row_shr:4 row_mask:0xf bank_mask:0xf bound_ctrl:1
	s_delay_alu instid0(VALU_DEP_4) | instskip(NEXT) | instid1(VALU_DEP_2)
	v_add_f32_dpp v30, v30, v30 row_shr:1 row_mask:0xf bank_mask:0xf bound_ctrl:1
	v_add_f32_dpp v28, v28, v28 row_shr:2 row_mask:0xf bank_mask:0xf bound_ctrl:1
	s_delay_alu instid0(VALU_DEP_2) | instskip(NEXT) | instid1(VALU_DEP_2)
.Ltmp240:
	.loc	2 293 36                        ; standard.py:293:36 @[ attention_bwd.py:19:19 ]
	v_permlanex16_b32 v35, v30, -1, -1 op_sel:[1,0]
.Ltmp241:
	.loc	2 263 15                        ; standard.py:263:15 @[ standard.py:293:36 @[ attention_bwd.py:19:19 ] ]
	v_add_f32_dpp v28, v28, v28 row_shr:1 row_mask:0xf bank_mask:0xf bound_ctrl:1
	s_delay_alu instid0(VALU_DEP_2) | instskip(SKIP_1) | instid1(VALU_DEP_3)
	v_add_f32_e32 v30, v30, v35
	v_add_f32_dpp v35, v120, v120 row_shr:4 row_mask:0xf bank_mask:0xf bound_ctrl:1
.Ltmp242:
	.loc	2 293 36                        ; standard.py:293:36 @[ attention_bwd.py:19:19 ]
	v_permlanex16_b32 v33, v28, -1, -1 op_sel:[1,0]
	s_delay_alu instid0(VALU_DEP_3) | instskip(SKIP_1) | instid1(VALU_DEP_3)
	v_readlane_b32 s21, v30, 31
.Ltmp243:
	.loc	2 263 15                        ; standard.py:263:15 @[ standard.py:293:36 @[ attention_bwd.py:19:19 ] ]
	v_add_f32_dpp v30, v104, v104 row_shr:4 row_mask:0xf bank_mask:0xf bound_ctrl:1
	v_add_f32_e32 v28, v28, v33
	s_delay_alu instid0(VALU_DEP_2) | instskip(NEXT) | instid1(VALU_DEP_2)
	v_add_f32_dpp v30, v30, v30 row_shr:2 row_mask:0xf bank_mask:0xf bound_ctrl:1
.Ltmp244:
	.loc	2 293 36                        ; standard.py:293:36 @[ attention_bwd.py:19:19 ]
	v_readlane_b32 s39, v28, 31
.Ltmp245:
	.loc	2 263 15                        ; standard.py:263:15 @[ standard.py:293:36 @[ attention_bwd.py:19:19 ] ]
	v_add_f32_dpp v28, v102, v102 row_shr:4 row_mask:0xf bank_mask:0xf bound_ctrl:1
	s_delay_alu instid0(VALU_DEP_3) | instskip(NEXT) | instid1(VALU_DEP_2)
	v_add_f32_dpp v30, v30, v30 row_shr:1 row_mask:0xf bank_mask:0xf bound_ctrl:1
	v_add_f32_dpp v28, v28, v28 row_shr:2 row_mask:0xf bank_mask:0xf bound_ctrl:1
	s_delay_alu instid0(VALU_DEP_1) | instskip(NEXT) | instid1(VALU_DEP_1)
	v_add_f32_dpp v28, v28, v28 row_shr:1 row_mask:0xf bank_mask:0xf bound_ctrl:1
.Ltmp246:
	.loc	2 293 36                        ; standard.py:293:36 @[ attention_bwd.py:19:19 ]
	v_permlanex16_b32 v33, v28, -1, -1 op_sel:[1,0]
.Ltmp247:
	.loc	2 263 15                        ; standard.py:263:15 @[ standard.py:293:36 @[ attention_bwd.py:19:19 ] ]
	v_add_f32_e32 v31, v31, v34
.Ltmp248:
	.loc	2 293 36                        ; standard.py:293:36 @[ attention_bwd.py:19:19 ]
	v_permlanex16_b32 v34, v29, -1, -1 op_sel:[1,0]
	s_delay_alu instid0(VALU_DEP_3) | instskip(NEXT) | instid1(VALU_DEP_3)
.Ltmp249:
	.loc	2 263 15                        ; standard.py:263:15 @[ standard.py:293:36 @[ attention_bwd.py:19:19 ] ]
	v_add_f32_e32 v28, v28, v33
.Ltmp250:
	.loc	2 293 36                        ; standard.py:293:36 @[ attention_bwd.py:19:19 ]
	v_readlane_b32 s57, v31, 31
	s_delay_alu instid0(VALU_DEP_3) | instskip(SKIP_1) | instid1(VALU_DEP_4)
.Ltmp251:
	.loc	2 263 15                        ; standard.py:263:15 @[ standard.py:293:36 @[ attention_bwd.py:19:19 ] ]
	v_add_f32_e32 v29, v29, v34
	v_add_f32_dpp v31, v41, v41 row_shr:4 row_mask:0xf bank_mask:0xf bound_ctrl:1
.Ltmp252:
	.loc	2 293 36                        ; standard.py:293:36 @[ attention_bwd.py:19:19 ]
	v_readlane_b32 s30, v28, 31
.Ltmp253:
	.loc	2 263 15                        ; standard.py:263:15 @[ standard.py:293:36 @[ attention_bwd.py:19:19 ] ]
	v_add_f32_dpp v28, v109, v109 row_shr:4 row_mask:0xf bank_mask:0xf bound_ctrl:1
	s_delay_alu instid0(VALU_DEP_4) | instskip(SKIP_2) | instid1(VALU_DEP_4)
.Ltmp254:
	.loc	2 293 36                        ; standard.py:293:36 @[ attention_bwd.py:19:19 ]
	v_readlane_b32 s40, v29, 31
.Ltmp255:
	.loc	2 263 15                        ; standard.py:263:15 @[ standard.py:293:36 @[ attention_bwd.py:19:19 ] ]
	v_add_f32_dpp v29, v89, v89 row_shr:4 row_mask:0xf bank_mask:0xf bound_ctrl:1
	v_add_f32_dpp v31, v31, v31 row_shr:2 row_mask:0xf bank_mask:0xf bound_ctrl:1
	;; [unrolled: 1-line block ×3, first 2 shown]
	s_delay_alu instid0(VALU_DEP_3) | instskip(NEXT) | instid1(VALU_DEP_3)
	v_add_f32_dpp v29, v29, v29 row_shr:2 row_mask:0xf bank_mask:0xf bound_ctrl:1
	v_add_f32_dpp v31, v31, v31 row_shr:1 row_mask:0xf bank_mask:0xf bound_ctrl:1
	s_delay_alu instid0(VALU_DEP_3) | instskip(NEXT) | instid1(VALU_DEP_3)
	v_add_f32_dpp v28, v28, v28 row_shr:1 row_mask:0xf bank_mask:0xf bound_ctrl:1
	v_add_f32_dpp v29, v29, v29 row_shr:1 row_mask:0xf bank_mask:0xf bound_ctrl:1
	s_delay_alu instid0(VALU_DEP_3) | instskip(NEXT) | instid1(VALU_DEP_3)
.Ltmp256:
	.loc	2 293 36                        ; standard.py:293:36 @[ attention_bwd.py:19:19 ]
	v_permlanex16_b32 v36, v31, -1, -1 op_sel:[1,0]
	v_permlanex16_b32 v33, v28, -1, -1 op_sel:[1,0]
.Ltmp257:
	.loc	2 263 15                        ; standard.py:263:15 @[ standard.py:293:36 @[ attention_bwd.py:19:19 ] ]
	v_add_f32_e32 v27, v27, v32
	s_delay_alu instid0(VALU_DEP_4) | instskip(NEXT) | instid1(VALU_DEP_3)
.Ltmp258:
	.loc	2 293 36                        ; standard.py:293:36 @[ attention_bwd.py:19:19 ]
	v_permlanex16_b32 v34, v29, -1, -1 op_sel:[1,0]
.Ltmp259:
	.loc	2 263 15                        ; standard.py:263:15 @[ standard.py:293:36 @[ attention_bwd.py:19:19 ] ]
	v_add_f32_e32 v28, v28, v33
	s_delay_alu instid0(VALU_DEP_3) | instskip(SKIP_1) | instid1(VALU_DEP_4)
.Ltmp260:
	.loc	2 293 36                        ; standard.py:293:36 @[ attention_bwd.py:19:19 ]
	v_readlane_b32 s51, v27, 31
.Ltmp261:
	.loc	2 263 15                        ; standard.py:263:15 @[ standard.py:293:36 @[ attention_bwd.py:19:19 ] ]
	v_add_f32_dpp v27, v45, v45 row_shr:4 row_mask:0xf bank_mask:0xf bound_ctrl:1
	v_add_f32_e32 v29, v29, v34
	v_add_f32_dpp v33, v106, v106 row_shr:4 row_mask:0xf bank_mask:0xf bound_ctrl:1
.Ltmp262:
	.loc	2 293 36                        ; standard.py:293:36 @[ attention_bwd.py:19:19 ]
	v_readlane_b32 s29, v28, 31
	s_delay_alu instid0(VALU_DEP_4) | instskip(NEXT) | instid1(VALU_DEP_4)
.Ltmp263:
	.loc	2 263 15                        ; standard.py:263:15 @[ standard.py:293:36 @[ attention_bwd.py:19:19 ] ]
	v_add_f32_dpp v27, v27, v27 row_shr:2 row_mask:0xf bank_mask:0xf bound_ctrl:1
.Ltmp264:
	.loc	2 293 36                        ; standard.py:293:36 @[ attention_bwd.py:19:19 ]
	v_readlane_b32 s31, v29, 31
.Ltmp265:
	.loc	2 263 15                        ; standard.py:263:15 @[ standard.py:293:36 @[ attention_bwd.py:19:19 ] ]
	v_add_f32_dpp v29, v113, v113 row_shr:4 row_mask:0xf bank_mask:0xf bound_ctrl:1
	s_delay_alu instid0(VALU_DEP_3) | instskip(NEXT) | instid1(VALU_DEP_2)
	v_add_f32_dpp v27, v27, v27 row_shr:1 row_mask:0xf bank_mask:0xf bound_ctrl:1
	v_add_f32_dpp v29, v29, v29 row_shr:2 row_mask:0xf bank_mask:0xf bound_ctrl:1
	s_delay_alu instid0(VALU_DEP_2) | instskip(NEXT) | instid1(VALU_DEP_2)
.Ltmp266:
	.loc	2 293 36                        ; standard.py:293:36 @[ attention_bwd.py:19:19 ]
	v_permlanex16_b32 v32, v27, -1, -1 op_sel:[1,0]
.Ltmp267:
	.loc	2 263 15                        ; standard.py:263:15 @[ standard.py:293:36 @[ attention_bwd.py:19:19 ] ]
	v_add_f32_dpp v29, v29, v29 row_shr:1 row_mask:0xf bank_mask:0xf bound_ctrl:1
	s_delay_alu instid0(VALU_DEP_2) | instskip(NEXT) | instid1(VALU_DEP_2)
	v_add_f32_e32 v27, v27, v32
.Ltmp268:
	.loc	2 293 36                        ; standard.py:293:36 @[ attention_bwd.py:19:19 ]
	v_permlanex16_b32 v34, v29, -1, -1 op_sel:[1,0]
	s_delay_alu instid0(VALU_DEP_2) | instskip(SKIP_1) | instid1(VALU_DEP_3)
	v_readlane_b32 s43, v27, 31
.Ltmp269:
	.loc	2 263 15                        ; standard.py:263:15 @[ standard.py:293:36 @[ attention_bwd.py:19:19 ] ]
	v_add_f32_dpp v27, v100, v100 row_shr:4 row_mask:0xf bank_mask:0xf bound_ctrl:1
	v_add_f32_e32 v29, v29, v34
	s_delay_alu instid0(VALU_DEP_2) | instskip(NEXT) | instid1(VALU_DEP_2)
	v_add_f32_dpp v27, v27, v27 row_shr:2 row_mask:0xf bank_mask:0xf bound_ctrl:1
.Ltmp270:
	.loc	2 293 36                        ; standard.py:293:36 @[ attention_bwd.py:19:19 ]
	v_readlane_b32 s23, v29, 31
.Ltmp271:
	.loc	2 263 15                        ; standard.py:263:15 @[ standard.py:293:36 @[ attention_bwd.py:19:19 ] ]
	v_add_f32_dpp v29, v112, v112 row_shr:4 row_mask:0xf bank_mask:0xf bound_ctrl:1
	s_delay_alu instid0(VALU_DEP_3) | instskip(NEXT) | instid1(VALU_DEP_2)
	v_add_f32_dpp v27, v27, v27 row_shr:1 row_mask:0xf bank_mask:0xf bound_ctrl:1
	v_add_f32_dpp v29, v29, v29 row_shr:2 row_mask:0xf bank_mask:0xf bound_ctrl:1
	s_delay_alu instid0(VALU_DEP_2) | instskip(NEXT) | instid1(VALU_DEP_2)
.Ltmp272:
	.loc	2 293 36                        ; standard.py:293:36 @[ attention_bwd.py:19:19 ]
	v_permlanex16_b32 v32, v27, -1, -1 op_sel:[1,0]
.Ltmp273:
	.loc	2 263 15                        ; standard.py:263:15 @[ standard.py:293:36 @[ attention_bwd.py:19:19 ] ]
	v_add_f32_dpp v29, v29, v29 row_shr:1 row_mask:0xf bank_mask:0xf bound_ctrl:1
	s_delay_alu instid0(VALU_DEP_2) | instskip(NEXT) | instid1(VALU_DEP_2)
	v_add_f32_e32 v27, v27, v32
.Ltmp274:
	.loc	2 293 36                        ; standard.py:293:36 @[ attention_bwd.py:19:19 ]
	v_permlanex16_b32 v34, v29, -1, -1 op_sel:[1,0]
	s_delay_alu instid0(VALU_DEP_2) | instskip(SKIP_1) | instid1(VALU_DEP_3)
	v_readlane_b32 s37, v27, 31
.Ltmp275:
	.loc	2 263 15                        ; standard.py:263:15 @[ standard.py:293:36 @[ attention_bwd.py:19:19 ] ]
	v_add_f32_dpp v27, v108, v108 row_shr:4 row_mask:0xf bank_mask:0xf bound_ctrl:1
	v_add_f32_e32 v29, v29, v34
	s_delay_alu instid0(VALU_DEP_2) | instskip(NEXT) | instid1(VALU_DEP_2)
	v_add_f32_dpp v27, v27, v27 row_shr:2 row_mask:0xf bank_mask:0xf bound_ctrl:1
.Ltmp276:
	.loc	2 293 36                        ; standard.py:293:36 @[ attention_bwd.py:19:19 ]
	v_readlane_b32 s27, v29, 31
	s_delay_alu instid0(VALU_DEP_2) | instskip(NEXT) | instid1(VALU_DEP_1)
.Ltmp277:
	.loc	2 263 15                        ; standard.py:263:15 @[ standard.py:293:36 @[ attention_bwd.py:19:19 ] ]
	v_add_f32_dpp v27, v27, v27 row_shr:1 row_mask:0xf bank_mask:0xf bound_ctrl:1
.Ltmp278:
	.loc	2 293 36                        ; standard.py:293:36 @[ attention_bwd.py:19:19 ]
	v_permlanex16_b32 v32, v27, -1, -1 op_sel:[1,0]
	s_delay_alu instid0(VALU_DEP_1) | instskip(SKIP_1) | instid1(VALU_DEP_2)
.Ltmp279:
	.loc	2 263 15                        ; standard.py:263:15 @[ standard.py:293:36 @[ attention_bwd.py:19:19 ] ]
	v_add_f32_e32 v27, v27, v32
	v_add_f32_dpp v32, v105, v105 row_shr:4 row_mask:0xf bank_mask:0xf bound_ctrl:1
.Ltmp280:
	.loc	2 293 36                        ; standard.py:293:36 @[ attention_bwd.py:19:19 ]
	v_readlane_b32 s35, v27, 31
.Ltmp281:
	.loc	2 263 15                        ; standard.py:263:15 @[ standard.py:293:36 @[ attention_bwd.py:19:19 ] ]
	v_add_f32_dpp v27, v107, v107 row_shr:4 row_mask:0xf bank_mask:0xf bound_ctrl:1
	s_delay_alu instid0(VALU_DEP_3) | instskip(SKIP_2) | instid1(VALU_DEP_4)
	v_add_f32_dpp v28, v32, v32 row_shr:2 row_mask:0xf bank_mask:0xf bound_ctrl:1
	v_add_f32_dpp v32, v33, v33 row_shr:2 row_mask:0xf bank_mask:0xf bound_ctrl:1
	;; [unrolled: 1-line block ×4, first 2 shown]
	s_delay_alu instid0(VALU_DEP_4) | instskip(NEXT) | instid1(VALU_DEP_4)
	v_add_f32_dpp v28, v28, v28 row_shr:1 row_mask:0xf bank_mask:0xf bound_ctrl:1
	v_add_f32_dpp v29, v32, v32 row_shr:1 row_mask:0xf bank_mask:0xf bound_ctrl:1
	s_delay_alu instid0(VALU_DEP_3) | instskip(NEXT) | instid1(VALU_DEP_2)
	v_add_f32_dpp v27, v27, v27 row_shr:1 row_mask:0xf bank_mask:0xf bound_ctrl:1
.Ltmp282:
	.loc	2 293 36                        ; standard.py:293:36 @[ attention_bwd.py:19:19 ]
	v_permlanex16_b32 v32, v29, -1, -1 op_sel:[1,0]
	s_delay_alu instid0(VALU_DEP_2) | instskip(NEXT) | instid1(VALU_DEP_2)
	v_permlanex16_b32 v34, v27, -1, -1 op_sel:[1,0]
.Ltmp283:
	.loc	2 263 15                        ; standard.py:263:15 @[ standard.py:293:36 @[ attention_bwd.py:19:19 ] ]
	v_add_f32_e32 v29, v29, v32
	v_add_f32_dpp v32, v118, v118 row_shr:4 row_mask:0xf bank_mask:0xf bound_ctrl:1
	s_delay_alu instid0(VALU_DEP_3) | instskip(SKIP_2) | instid1(VALU_DEP_4)
	v_add_f32_e32 v27, v27, v34
.Ltmp284:
	.loc	2 293 36                        ; standard.py:293:36 @[ attention_bwd.py:19:19 ]
	v_permlanex16_b32 v34, v30, -1, -1 op_sel:[1,0]
.Ltmp285:
	.loc	2 263 15                        ; standard.py:263:15 @[ standard.py:293:36 @[ attention_bwd.py:19:19 ] ]
	v_add_f32_e32 v31, v31, v36
	v_add_f32_dpp v32, v32, v32 row_shr:2 row_mask:0xf bank_mask:0xf bound_ctrl:1
.Ltmp286:
	.loc	2 293 36                        ; standard.py:293:36 @[ attention_bwd.py:19:19 ]
	v_readlane_b32 s33, v29, 31
	v_readlane_b32 s26, v27, 31
.Ltmp287:
	.loc	2 263 15                        ; standard.py:263:15 @[ standard.py:293:36 @[ attention_bwd.py:19:19 ] ]
	v_add_f32_e32 v30, v30, v34
.Ltmp288:
	.loc	2 293 36                        ; standard.py:293:36 @[ attention_bwd.py:19:19 ]
	v_readlane_b32 s28, v31, 31
.Ltmp289:
	.loc	2 263 15                        ; standard.py:263:15 @[ standard.py:293:36 @[ attention_bwd.py:19:19 ] ]
	v_add_f32_dpp v31, v101, v101 row_shr:4 row_mask:0xf bank_mask:0xf bound_ctrl:1
	v_add_f32_dpp v34, v35, v35 row_shr:2 row_mask:0xf bank_mask:0xf bound_ctrl:1
	;; [unrolled: 1-line block ×3, first 2 shown]
.Ltmp290:
	.loc	2 293 36                        ; standard.py:293:36 @[ attention_bwd.py:19:19 ]
	v_readlane_b32 s22, v30, 31
	v_mov_b32_dpp v30, v141 row_shr:8 row_mask:0xf bank_mask:0xf bound_ctrl:1
.Ltmp291:
	.loc	2 263 15                        ; standard.py:263:15 @[ standard.py:293:36 @[ attention_bwd.py:19:19 ] ]
	v_add_f32_dpp v31, v31, v31 row_shr:2 row_mask:0xf bank_mask:0xf bound_ctrl:1
	s_delay_alu instid0(VALU_DEP_2) | instskip(NEXT) | instid1(VALU_DEP_2)
	v_fma_mix_f32 v30, v129, v134, v30 op_sel_hi:[1,1,0]
	v_add_f32_dpp v31, v31, v31 row_shr:1 row_mask:0xf bank_mask:0xf bound_ctrl:1
	s_delay_alu instid0(VALU_DEP_2) | instskip(NEXT) | instid1(VALU_DEP_2)
	v_add_f32_dpp v30, v30, v30 row_shr:4 row_mask:0xf bank_mask:0xf bound_ctrl:1
.Ltmp292:
	.loc	2 293 36                        ; standard.py:293:36 @[ attention_bwd.py:19:19 ]
	v_permlanex16_b32 v36, v31, -1, -1 op_sel:[1,0]
	s_delay_alu instid0(VALU_DEP_2) | instskip(NEXT) | instid1(VALU_DEP_2)
.Ltmp293:
	.loc	2 263 15                        ; standard.py:263:15 @[ standard.py:293:36 @[ attention_bwd.py:19:19 ] ]
	v_add_f32_dpp v30, v30, v30 row_shr:2 row_mask:0xf bank_mask:0xf bound_ctrl:1
	v_add_f32_e32 v31, v31, v36
	s_delay_alu instid0(VALU_DEP_2) | instskip(NEXT) | instid1(VALU_DEP_2)
	v_add_f32_dpp v30, v30, v30 row_shr:1 row_mask:0xf bank_mask:0xf bound_ctrl:1
.Ltmp294:
	.loc	2 293 36                        ; standard.py:293:36 @[ attention_bwd.py:19:19 ]
	v_readlane_b32 s18, v31, 31
.Ltmp295:
	.loc	2 263 15                        ; standard.py:263:15 @[ standard.py:293:36 @[ attention_bwd.py:19:19 ] ]
	v_add_f32_dpp v31, v115, v115 row_shr:4 row_mask:0xf bank_mask:0xf bound_ctrl:1
	s_delay_alu instid0(VALU_DEP_1) | instskip(NEXT) | instid1(VALU_DEP_1)
	v_add_f32_dpp v31, v31, v31 row_shr:2 row_mask:0xf bank_mask:0xf bound_ctrl:1
	v_add_f32_dpp v31, v31, v31 row_shr:1 row_mask:0xf bank_mask:0xf bound_ctrl:1
	s_delay_alu instid0(VALU_DEP_1) | instskip(NEXT) | instid1(VALU_DEP_1)
.Ltmp296:
	.loc	2 293 36                        ; standard.py:293:36 @[ attention_bwd.py:19:19 ]
	v_permlanex16_b32 v36, v31, -1, -1 op_sel:[1,0]
.Ltmp297:
	.loc	2 263 15                        ; standard.py:263:15 @[ standard.py:293:36 @[ attention_bwd.py:19:19 ] ]
	v_add_f32_e32 v31, v31, v36
	s_delay_alu instid0(VALU_DEP_1) | instskip(SKIP_1) | instid1(VALU_DEP_1)
.Ltmp298:
	.loc	2 293 36                        ; standard.py:293:36 @[ attention_bwd.py:19:19 ]
	v_readlane_b32 s12, v31, 31
.Ltmp299:
	.loc	2 263 15                        ; standard.py:263:15 @[ standard.py:293:36 @[ attention_bwd.py:19:19 ] ]
	v_add_f32_dpp v31, v111, v111 row_shr:4 row_mask:0xf bank_mask:0xf bound_ctrl:1
	v_add_f32_dpp v31, v31, v31 row_shr:2 row_mask:0xf bank_mask:0xf bound_ctrl:1
	s_delay_alu instid0(VALU_DEP_1) | instskip(NEXT) | instid1(VALU_DEP_1)
	v_add_f32_dpp v31, v31, v31 row_shr:1 row_mask:0xf bank_mask:0xf bound_ctrl:1
.Ltmp300:
	.loc	2 293 36                        ; standard.py:293:36 @[ attention_bwd.py:19:19 ]
	v_permlanex16_b32 v36, v31, -1, -1 op_sel:[1,0]
	s_delay_alu instid0(VALU_DEP_1) | instskip(NEXT) | instid1(VALU_DEP_1)
.Ltmp301:
	.loc	2 263 15                        ; standard.py:263:15 @[ standard.py:293:36 @[ attention_bwd.py:19:19 ] ]
	v_add_f32_e32 v31, v31, v36
.Ltmp302:
	.loc	2 293 36                        ; standard.py:293:36 @[ attention_bwd.py:19:19 ]
	v_readlane_b32 s16, v31, 31
	v_permlanex16_b32 v31, v28, -1, -1 op_sel:[1,0]
	s_delay_alu instid0(VALU_DEP_1) | instskip(SKIP_2) | instid1(VALU_DEP_3)
.Ltmp303:
	.loc	2 263 15                        ; standard.py:263:15 @[ standard.py:293:36 @[ attention_bwd.py:19:19 ] ]
	v_add_f32_e32 v28, v28, v31
	v_add_f32_dpp v31, v33, v33 row_shr:2 row_mask:0xf bank_mask:0xf bound_ctrl:1
	v_add_f32_dpp v33, v119, v119 row_shr:4 row_mask:0xf bank_mask:0xf bound_ctrl:1
.Ltmp304:
	.loc	2 293 36                        ; standard.py:293:36 @[ attention_bwd.py:19:19 ]
	v_readlane_b32 s38, v28, 31
	s_delay_alu instid0(VALU_DEP_3) | instskip(NEXT) | instid1(VALU_DEP_3)
.Ltmp305:
	.loc	2 263 15                        ; standard.py:263:15 @[ standard.py:293:36 @[ attention_bwd.py:19:19 ] ]
	v_add_f32_dpp v31, v31, v31 row_shr:1 row_mask:0xf bank_mask:0xf bound_ctrl:1
	v_add_f32_dpp v33, v33, v33 row_shr:2 row_mask:0xf bank_mask:0xf bound_ctrl:1
	;; [unrolled: 1-line block ×3, first 2 shown]
.Ltmp306:
	.loc	2 293 36                        ; standard.py:293:36 @[ attention_bwd.py:19:19 ]
	v_permlanex16_b32 v34, v32, -1, -1 op_sel:[1,0]
	s_delay_alu instid0(VALU_DEP_4) | instskip(NEXT) | instid1(VALU_DEP_4)
	v_permlanex16_b32 v36, v31, -1, -1 op_sel:[1,0]
.Ltmp307:
	.loc	2 263 15                        ; standard.py:263:15 @[ standard.py:293:36 @[ attention_bwd.py:19:19 ] ]
	v_add_f32_dpp v33, v33, v33 row_shr:1 row_mask:0xf bank_mask:0xf bound_ctrl:1
	s_delay_alu instid0(VALU_DEP_4) | instskip(NEXT) | instid1(VALU_DEP_4)
.Ltmp308:
	.loc	2 293 36                        ; standard.py:293:36 @[ attention_bwd.py:19:19 ]
	v_permlanex16_b32 v27, v28, -1, -1 op_sel:[1,0]
.Ltmp309:
	.loc	2 263 15                        ; standard.py:263:15 @[ standard.py:293:36 @[ attention_bwd.py:19:19 ] ]
	v_add_f32_e32 v29, v32, v34
	s_delay_alu instid0(VALU_DEP_4) | instskip(NEXT) | instid1(VALU_DEP_4)
	v_add_f32_e32 v31, v31, v36
.Ltmp310:
	.loc	2 293 36                        ; standard.py:293:36 @[ attention_bwd.py:19:19 ]
	v_permlanex16_b32 v35, v33, -1, -1 op_sel:[1,0]
	s_delay_alu instid0(VALU_DEP_4) | instskip(NEXT) | instid1(VALU_DEP_4)
.Ltmp311:
	.loc	2 263 15                        ; standard.py:263:15 @[ standard.py:293:36 @[ attention_bwd.py:19:19 ] ]
	v_add_f32_e32 v27, v28, v27
.Ltmp312:
	.loc	2 293 36                        ; standard.py:293:36 @[ attention_bwd.py:19:19 ]
	v_readlane_b32 s10, v29, 31
	v_mov_b32_dpp v29, v142 row_shr:8 row_mask:0xf bank_mask:0xf bound_ctrl:1
	v_readlane_b32 s15, v31, 31
.Ltmp313:
	.loc	2 263 15                        ; standard.py:263:15 @[ standard.py:293:36 @[ attention_bwd.py:19:19 ] ]
	v_add_f32_e32 v32, v33, v35
.Ltmp314:
	.loc	2 293 36                        ; standard.py:293:36 @[ attention_bwd.py:19:19 ]
	v_mov_b32_dpp v31, v140 row_shr:8 row_mask:0xf bank_mask:0xf bound_ctrl:1
.Ltmp315:
	.loc	2 263 15                        ; standard.py:263:15 @[ standard.py:293:36 @[ attention_bwd.py:19:19 ] ]
	v_add_f32_dpp v33, v117, v117 row_shr:4 row_mask:0xf bank_mask:0xf bound_ctrl:1
	v_fma_mix_f32 v29, v131, v133, v29 op_sel_hi:[1,1,0]
.Ltmp316:
	.loc	2 293 36                        ; standard.py:293:36 @[ attention_bwd.py:19:19 ]
	v_readlane_b32 s3, v27, 31
	v_readlane_b32 s4, v32, 31
.Ltmp317:
	.loc	2 263 15                        ; standard.py:263:15 @[ standard.py:293:36 @[ attention_bwd.py:19:19 ] ]
	v_add_f32_dpp v32, v116, v116 row_shr:4 row_mask:0xf bank_mask:0xf bound_ctrl:1
	v_fma_mix_f32 v31, v130, v135, v31 op_sel_hi:[1,1,0]
	v_add_f32_dpp v29, v29, v29 row_shr:4 row_mask:0xf bank_mask:0xf bound_ctrl:1
	v_add_f32_dpp v33, v33, v33 row_shr:2 row_mask:0xf bank_mask:0xf bound_ctrl:1
.Ltmp318:
	.loc	1 13 54                         ; attention_bwd.py:13:54
	v_and_b32_e32 v27, 64, v0
.Ltmp319:
	.loc	2 263 15                        ; standard.py:263:15 @[ standard.py:293:36 @[ attention_bwd.py:19:19 ] ]
	v_add_f32_dpp v32, v32, v32 row_shr:2 row_mask:0xf bank_mask:0xf bound_ctrl:1
	v_add_f32_dpp v31, v31, v31 row_shr:4 row_mask:0xf bank_mask:0xf bound_ctrl:1
	;; [unrolled: 1-line block ×4, first 2 shown]
.Ltmp320:
	.loc	1 13 54                         ; attention_bwd.py:13:54
	v_and_b32_e32 v28, 31, v0
.Ltmp321:
	.loc	2 263 15                        ; standard.py:263:15 @[ standard.py:293:36 @[ attention_bwd.py:19:19 ] ]
	v_add_f32_dpp v32, v32, v32 row_shr:1 row_mask:0xf bank_mask:0xf bound_ctrl:1
	v_add_f32_dpp v31, v31, v31 row_shr:2 row_mask:0xf bank_mask:0xf bound_ctrl:1
	;; [unrolled: 1-line block ×3, first 2 shown]
.Ltmp322:
	.loc	2 293 36                        ; standard.py:293:36 @[ attention_bwd.py:19:19 ]
	v_permlanex16_b32 v35, v33, -1, -1 op_sel:[1,0]
	v_cmp_eq_u32_e32 vcc_lo, 0, v28
	v_permlanex16_b32 v34, v32, -1, -1 op_sel:[1,0]
.Ltmp323:
	.loc	2 263 15                        ; standard.py:263:15 @[ standard.py:293:36 @[ attention_bwd.py:19:19 ] ]
	v_add_f32_dpp v31, v31, v31 row_shr:1 row_mask:0xf bank_mask:0xf bound_ctrl:1
.Ltmp324:
	.loc	2 293 36                        ; standard.py:293:36 @[ attention_bwd.py:19:19 ]
	v_permlanex16_b32 v36, v29, -1, -1 op_sel:[1,0]
	s_delay_alu instid0(VALU_DEP_3) | instskip(SKIP_1) | instid1(VALU_DEP_4)
.Ltmp325:
	.loc	2 263 15                        ; standard.py:263:15 @[ standard.py:293:36 @[ attention_bwd.py:19:19 ] ]
	v_dual_add_f32 v33, v33, v35 :: v_dual_add_f32 v32, v32, v34
.Ltmp326:
	.loc	2 293 36                        ; standard.py:293:36 @[ attention_bwd.py:19:19 ]
	v_permlanex16_b32 v34, v30, -1, -1 op_sel:[1,0]
	v_permlanex16_b32 v37, v31, -1, -1 op_sel:[1,0]
	s_delay_alu instid0(VALU_DEP_4) | instskip(NEXT) | instid1(VALU_DEP_4)
.Ltmp327:
	.loc	2 263 15                        ; standard.py:263:15 @[ standard.py:293:36 @[ attention_bwd.py:19:19 ] ]
	v_add_f32_e32 v29, v29, v36
.Ltmp328:
	.loc	2 293 36                        ; standard.py:293:36 @[ attention_bwd.py:19:19 ]
	v_readlane_b32 s14, v33, 31
	v_readlane_b32 s19, v32, 31
	s_delay_alu instid0(VALU_DEP_4) | instskip(NEXT) | instid1(VALU_DEP_4)
.Ltmp329:
	.loc	2 263 15                        ; standard.py:263:15 @[ standard.py:293:36 @[ attention_bwd.py:19:19 ] ]
	v_dual_add_f32 v30, v30, v34 :: v_dual_add_f32 v31, v31, v37
.Ltmp330:
	.loc	2 293 36                        ; standard.py:293:36 @[ attention_bwd.py:19:19 ]
	v_readlane_b32 s7, v29, 31
	v_mov_b32_dpp v29, v139 row_shr:8 row_mask:0xf bank_mask:0xf bound_ctrl:1
	v_mov_b32_dpp v32, v136 row_shr:8 row_mask:0xf bank_mask:0xf bound_ctrl:1
	s_delay_alu instid0(VALU_DEP_4)
	v_readlane_b32 s5, v30, 31
	v_mov_b32_dpp v30, v138 row_shr:8 row_mask:0xf bank_mask:0xf bound_ctrl:1
	v_readlane_b32 s2, v31, 31
	v_mov_b32_dpp v31, v137 row_shr:8 row_mask:0xf bank_mask:0xf bound_ctrl:1
.Ltmp331:
	.loc	2 263 15                        ; standard.py:263:15 @[ standard.py:293:36 @[ attention_bwd.py:19:19 ] ]
	v_fma_mix_f32 v29, v128, v127, v29 op_sel_hi:[1,1,0]
.Ltmp332:
	.loc	2 293 36                        ; standard.py:293:36 @[ attention_bwd.py:19:19 ]
	v_mov_b32_dpp v33, v99 row_shr:8 row_mask:0xf bank_mask:0xf bound_ctrl:1
.Ltmp333:
	.loc	2 263 15                        ; standard.py:263:15 @[ standard.py:293:36 @[ attention_bwd.py:19:19 ] ]
	v_fma_mix_f32 v30, v122, v125, v30 op_sel_hi:[1,1,0]
	v_fma_mix_f32 v32, v121, v124, v32 op_sel_hi:[1,1,0]
	;; [unrolled: 1-line block ×3, first 2 shown]
	v_add_f32_dpp v29, v29, v29 row_shr:4 row_mask:0xf bank_mask:0xf bound_ctrl:1
	v_fma_mix_f32 v33, v132, v69, v33 op_sel_hi:[1,1,0]
	v_add_f32_dpp v30, v30, v30 row_shr:4 row_mask:0xf bank_mask:0xf bound_ctrl:1
	v_add_f32_dpp v32, v32, v32 row_shr:4 row_mask:0xf bank_mask:0xf bound_ctrl:1
	;; [unrolled: 1-line block ×13, first 2 shown]
.Ltmp334:
	.loc	2 293 36                        ; standard.py:293:36 @[ attention_bwd.py:19:19 ]
	v_permlanex16_b32 v34, v29, -1, -1 op_sel:[1,0]
.Ltmp335:
	.loc	2 263 15                        ; standard.py:263:15 @[ standard.py:293:36 @[ attention_bwd.py:19:19 ] ]
	v_add_f32_dpp v33, v33, v33 row_shr:1 row_mask:0xf bank_mask:0xf bound_ctrl:1
.Ltmp336:
	.loc	2 293 36                        ; standard.py:293:36 @[ attention_bwd.py:19:19 ]
	v_permlanex16_b32 v35, v30, -1, -1 op_sel:[1,0]
	s_delay_alu instid0(VALU_DEP_4) | instskip(NEXT) | instid1(VALU_DEP_4)
	v_permlanex16_b32 v36, v31, -1, -1 op_sel:[1,0]
.Ltmp337:
	.loc	2 263 15                        ; standard.py:263:15 @[ standard.py:293:36 @[ attention_bwd.py:19:19 ] ]
	v_add_f32_e32 v29, v29, v34
.Ltmp338:
	.loc	2 293 36                        ; standard.py:293:36 @[ attention_bwd.py:19:19 ]
	v_permlanex16_b32 v34, v32, -1, -1 op_sel:[1,0]
	v_permlanex16_b32 v37, v33, -1, -1 op_sel:[1,0]
	s_delay_alu instid0(VALU_DEP_4) | instskip(NEXT) | instid1(VALU_DEP_4)
.Ltmp339:
	.loc	2 263 15                        ; standard.py:263:15 @[ standard.py:293:36 @[ attention_bwd.py:19:19 ] ]
	v_dual_add_f32 v30, v30, v35 :: v_dual_add_f32 v31, v31, v36
.Ltmp340:
	.loc	2 293 36                        ; standard.py:293:36 @[ attention_bwd.py:19:19 ]
	v_readlane_b32 s24, v29, 31
	s_delay_alu instid0(VALU_DEP_3) | instskip(NEXT) | instid1(VALU_DEP_3)
.Ltmp341:
	.loc	2 263 15                        ; standard.py:263:15 @[ standard.py:293:36 @[ attention_bwd.py:19:19 ] ]
	v_dual_add_f32 v29, v32, v34 :: v_dual_add_f32 v32, v33, v37
.Ltmp342:
	.loc	2 293 36                        ; standard.py:293:36 @[ attention_bwd.py:19:19 ]
	v_readlane_b32 s20, v30, 31
	v_lshrrev_b32_e32 v30, 5, v27
	v_readlane_b32 s13, v31, 31
	s_delay_alu instid0(VALU_DEP_4)
	v_readlane_b32 s11, v29, 31
	v_readlane_b32 s6, v32, 31
	v_bfe_u32 v29, v0, 5, 1
	v_lshl_add_u32 v28, v30, 2, 0
	s_and_saveexec_b32 s69, vcc_lo
	s_cbranch_execnz .LBB0_70
; %bb.1:
	.loc	2 0 36 is_stmt 0                ; standard.py:0:36
	s_or_b32 exec_lo, exec_lo, s69
	.loc	2 293 36                        ; standard.py:293:36 @[ attention_bwd.py:19:19 ]
	s_and_saveexec_b32 s45, vcc_lo
	s_cbranch_execnz .LBB0_71
.LBB0_2:
	.loc	2 0 36                          ; standard.py:0:36
	s_or_b32 exec_lo, exec_lo, s45
	.loc	2 293 36                        ; standard.py:293:36 @[ attention_bwd.py:19:19 ]
	s_and_saveexec_b32 s45, vcc_lo
	s_cbranch_execnz .LBB0_72
.LBB0_3:
	.loc	2 0 36                          ; standard.py:0:36
	s_or_b32 exec_lo, exec_lo, s45
	.loc	2 293 36                        ; standard.py:293:36 @[ attention_bwd.py:19:19 ]
	s_and_saveexec_b32 s45, vcc_lo
	s_cbranch_execnz .LBB0_73
.LBB0_4:
	.loc	2 0 36                          ; standard.py:0:36
	s_or_b32 exec_lo, exec_lo, s45
	.loc	2 293 36                        ; standard.py:293:36 @[ attention_bwd.py:19:19 ]
	s_and_saveexec_b32 s45, vcc_lo
	s_cbranch_execnz .LBB0_74
.LBB0_5:
	.loc	2 0 36                          ; standard.py:0:36
	s_or_b32 exec_lo, exec_lo, s45
	.loc	2 293 36                        ; standard.py:293:36 @[ attention_bwd.py:19:19 ]
	s_and_saveexec_b32 s45, vcc_lo
	s_cbranch_execnz .LBB0_75
.LBB0_6:
	.loc	2 0 36                          ; standard.py:0:36
	s_or_b32 exec_lo, exec_lo, s45
	.loc	2 293 36                        ; standard.py:293:36 @[ attention_bwd.py:19:19 ]
	s_and_saveexec_b32 s45, vcc_lo
	s_cbranch_execnz .LBB0_76
.LBB0_7:
	.loc	2 0 36                          ; standard.py:0:36
	s_or_b32 exec_lo, exec_lo, s45
	.loc	2 293 36                        ; standard.py:293:36 @[ attention_bwd.py:19:19 ]
	s_and_saveexec_b32 s45, vcc_lo
	s_cbranch_execnz .LBB0_77
.LBB0_8:
	.loc	2 0 36                          ; standard.py:0:36
	s_or_b32 exec_lo, exec_lo, s45
	.loc	2 293 36                        ; standard.py:293:36 @[ attention_bwd.py:19:19 ]
	s_and_saveexec_b32 s45, vcc_lo
	s_cbranch_execnz .LBB0_78
.LBB0_9:
	.loc	2 0 36                          ; standard.py:0:36
	s_or_b32 exec_lo, exec_lo, s45
	.loc	2 293 36                        ; standard.py:293:36 @[ attention_bwd.py:19:19 ]
	s_and_saveexec_b32 s45, vcc_lo
	s_cbranch_execnz .LBB0_79
.LBB0_10:
	.loc	2 0 36                          ; standard.py:0:36
	s_or_b32 exec_lo, exec_lo, s45
	.loc	2 293 36                        ; standard.py:293:36 @[ attention_bwd.py:19:19 ]
	s_and_saveexec_b32 s45, vcc_lo
	s_cbranch_execnz .LBB0_80
.LBB0_11:
	.loc	2 0 36                          ; standard.py:0:36
	s_or_b32 exec_lo, exec_lo, s45
	.loc	2 293 36                        ; standard.py:293:36 @[ attention_bwd.py:19:19 ]
	s_and_saveexec_b32 s45, vcc_lo
	s_cbranch_execnz .LBB0_81
.LBB0_12:
	.loc	2 0 36                          ; standard.py:0:36
	s_or_b32 exec_lo, exec_lo, s45
	.loc	2 293 36                        ; standard.py:293:36 @[ attention_bwd.py:19:19 ]
	s_and_saveexec_b32 s45, vcc_lo
	s_cbranch_execnz .LBB0_82
.LBB0_13:
	.loc	2 0 36                          ; standard.py:0:36
	s_or_b32 exec_lo, exec_lo, s45
	.loc	2 293 36                        ; standard.py:293:36 @[ attention_bwd.py:19:19 ]
	s_and_saveexec_b32 s45, vcc_lo
	s_cbranch_execnz .LBB0_83
.LBB0_14:
	.loc	2 0 36                          ; standard.py:0:36
	s_or_b32 exec_lo, exec_lo, s45
	.loc	2 293 36                        ; standard.py:293:36 @[ attention_bwd.py:19:19 ]
	s_and_saveexec_b32 s45, vcc_lo
	s_cbranch_execnz .LBB0_84
.LBB0_15:
	.loc	2 0 36                          ; standard.py:0:36
	s_or_b32 exec_lo, exec_lo, s45
	.loc	2 293 36                        ; standard.py:293:36 @[ attention_bwd.py:19:19 ]
	s_and_saveexec_b32 s45, vcc_lo
	s_cbranch_execnz .LBB0_85
.LBB0_16:
	.loc	2 0 36                          ; standard.py:0:36
	s_or_b32 exec_lo, exec_lo, s45
	.loc	2 293 36                        ; standard.py:293:36 @[ attention_bwd.py:19:19 ]
	s_and_saveexec_b32 s45, vcc_lo
	s_cbranch_execnz .LBB0_86
.LBB0_17:
	.loc	2 0 36                          ; standard.py:0:36
	s_or_b32 exec_lo, exec_lo, s45
	.loc	2 293 36                        ; standard.py:293:36 @[ attention_bwd.py:19:19 ]
	s_and_saveexec_b32 s45, vcc_lo
	s_cbranch_execnz .LBB0_87
.LBB0_18:
	.loc	2 0 36                          ; standard.py:0:36
	s_or_b32 exec_lo, exec_lo, s45
	.loc	2 293 36                        ; standard.py:293:36 @[ attention_bwd.py:19:19 ]
	s_and_saveexec_b32 s45, vcc_lo
	s_cbranch_execnz .LBB0_88
.LBB0_19:
	.loc	2 0 36                          ; standard.py:0:36
	s_or_b32 exec_lo, exec_lo, s45
	.loc	2 293 36                        ; standard.py:293:36 @[ attention_bwd.py:19:19 ]
	s_and_saveexec_b32 s45, vcc_lo
	s_cbranch_execnz .LBB0_89
.LBB0_20:
	.loc	2 0 36                          ; standard.py:0:36
	s_or_b32 exec_lo, exec_lo, s45
	.loc	2 293 36                        ; standard.py:293:36 @[ attention_bwd.py:19:19 ]
	s_and_saveexec_b32 s45, vcc_lo
	s_cbranch_execnz .LBB0_90
.LBB0_21:
	.loc	2 0 36                          ; standard.py:0:36
	s_or_b32 exec_lo, exec_lo, s45
	.loc	2 293 36                        ; standard.py:293:36 @[ attention_bwd.py:19:19 ]
	s_and_saveexec_b32 s42, vcc_lo
	s_cbranch_execnz .LBB0_91
.LBB0_22:
	.loc	2 0 36                          ; standard.py:0:36
	s_or_b32 exec_lo, exec_lo, s42
	.loc	2 293 36                        ; standard.py:293:36 @[ attention_bwd.py:19:19 ]
	s_and_saveexec_b32 s42, vcc_lo
	s_cbranch_execnz .LBB0_92
.LBB0_23:
	.loc	2 0 36                          ; standard.py:0:36
	s_or_b32 exec_lo, exec_lo, s42
	.loc	2 293 36                        ; standard.py:293:36 @[ attention_bwd.py:19:19 ]
	s_and_saveexec_b32 s42, vcc_lo
	s_cbranch_execnz .LBB0_93
.LBB0_24:
	.loc	2 0 36                          ; standard.py:0:36
	s_or_b32 exec_lo, exec_lo, s42
	.loc	2 293 36                        ; standard.py:293:36 @[ attention_bwd.py:19:19 ]
	s_and_saveexec_b32 s42, vcc_lo
	s_cbranch_execnz .LBB0_94
.LBB0_25:
	.loc	2 0 36                          ; standard.py:0:36
	s_or_b32 exec_lo, exec_lo, s42
	.loc	2 293 36                        ; standard.py:293:36 @[ attention_bwd.py:19:19 ]
	s_and_saveexec_b32 s41, vcc_lo
	s_cbranch_execnz .LBB0_95
.LBB0_26:
	.loc	2 0 36                          ; standard.py:0:36
	s_or_b32 exec_lo, exec_lo, s41
	.loc	2 293 36                        ; standard.py:293:36 @[ attention_bwd.py:19:19 ]
	s_and_saveexec_b32 s36, vcc_lo
	s_cbranch_execnz .LBB0_96
.LBB0_27:
	.loc	2 0 36                          ; standard.py:0:36
	s_or_b32 exec_lo, exec_lo, s36
	.loc	2 293 36                        ; standard.py:293:36 @[ attention_bwd.py:19:19 ]
	s_and_saveexec_b32 s36, vcc_lo
	s_cbranch_execnz .LBB0_97
.LBB0_28:
	.loc	2 0 36                          ; standard.py:0:36
	s_or_b32 exec_lo, exec_lo, s36
	.loc	2 293 36                        ; standard.py:293:36 @[ attention_bwd.py:19:19 ]
	s_and_saveexec_b32 s36, vcc_lo
	s_cbranch_execnz .LBB0_98
.LBB0_29:
	.loc	2 0 36                          ; standard.py:0:36
	s_or_b32 exec_lo, exec_lo, s36
	.loc	2 293 36                        ; standard.py:293:36 @[ attention_bwd.py:19:19 ]
	s_and_saveexec_b32 s36, vcc_lo
	s_cbranch_execnz .LBB0_99
.LBB0_30:
	.loc	2 0 36                          ; standard.py:0:36
	s_or_b32 exec_lo, exec_lo, s36
	.loc	2 293 36                        ; standard.py:293:36 @[ attention_bwd.py:19:19 ]
	s_and_saveexec_b32 s34, vcc_lo
	s_cbranch_execnz .LBB0_100
.LBB0_31:
	.loc	2 0 36                          ; standard.py:0:36
	s_or_b32 exec_lo, exec_lo, s34
	.loc	2 293 36                        ; standard.py:293:36 @[ attention_bwd.py:19:19 ]
	s_and_saveexec_b32 s28, vcc_lo
	s_cbranch_execnz .LBB0_101
.LBB0_32:
	.loc	2 0 36                          ; standard.py:0:36
	s_or_b32 exec_lo, exec_lo, s28
	.loc	2 293 36                        ; standard.py:293:36 @[ attention_bwd.py:19:19 ]
	s_and_saveexec_b32 s28, vcc_lo
	s_cbranch_execnz .LBB0_102
.LBB0_33:
	.loc	2 0 36                          ; standard.py:0:36
	s_or_b32 exec_lo, exec_lo, s28
	.loc	2 293 36                        ; standard.py:293:36 @[ attention_bwd.py:19:19 ]
	s_and_saveexec_b32 s28, vcc_lo
	s_cbranch_execnz .LBB0_103
.LBB0_34:
	.loc	2 0 36                          ; standard.py:0:36
	s_or_b32 exec_lo, exec_lo, s28
	.loc	2 293 36                        ; standard.py:293:36 @[ attention_bwd.py:19:19 ]
	s_and_saveexec_b32 s28, vcc_lo
	s_cbranch_execnz .LBB0_104
.LBB0_35:
	.loc	2 0 36                          ; standard.py:0:36
	s_or_b32 exec_lo, exec_lo, s28
	.loc	2 293 36                        ; standard.py:293:36 @[ attention_bwd.py:19:19 ]
	s_and_saveexec_b32 s25, vcc_lo
	s_cbranch_execnz .LBB0_105
.LBB0_36:
	.loc	2 0 36                          ; standard.py:0:36
	s_or_b32 exec_lo, exec_lo, s25
	.loc	2 293 36                        ; standard.py:293:36 @[ attention_bwd.py:19:19 ]
	s_and_saveexec_b32 s18, vcc_lo
	s_cbranch_execnz .LBB0_106
.LBB0_37:
	.loc	2 0 36                          ; standard.py:0:36
	s_or_b32 exec_lo, exec_lo, s18
	.loc	2 293 36                        ; standard.py:293:36 @[ attention_bwd.py:19:19 ]
	s_and_saveexec_b32 s18, vcc_lo
	s_cbranch_execnz .LBB0_107
.LBB0_38:
	.loc	2 0 36                          ; standard.py:0:36
	s_or_b32 exec_lo, exec_lo, s18
	.loc	2 293 36                        ; standard.py:293:36 @[ attention_bwd.py:19:19 ]
	s_and_saveexec_b32 s18, vcc_lo
	s_cbranch_execnz .LBB0_108
.LBB0_39:
	.loc	2 0 36                          ; standard.py:0:36
	s_or_b32 exec_lo, exec_lo, s18
	.loc	2 293 36                        ; standard.py:293:36 @[ attention_bwd.py:19:19 ]
	s_and_saveexec_b32 s18, vcc_lo
	s_cbranch_execnz .LBB0_109
.LBB0_40:
	.loc	2 0 36                          ; standard.py:0:36
	s_or_b32 exec_lo, exec_lo, s18
	.loc	2 293 36                        ; standard.py:293:36 @[ attention_bwd.py:19:19 ]
	s_and_saveexec_b32 s17, vcc_lo
	s_cbranch_execnz .LBB0_110
.LBB0_41:
	.loc	2 0 36                          ; standard.py:0:36
	s_or_b32 exec_lo, exec_lo, s17
	.loc	2 293 36                        ; standard.py:293:36 @[ attention_bwd.py:19:19 ]
	s_and_saveexec_b32 s12, vcc_lo
	s_cbranch_execnz .LBB0_111
.LBB0_42:
	.loc	2 0 36                          ; standard.py:0:36
	s_or_b32 exec_lo, exec_lo, s12
	.loc	2 293 36                        ; standard.py:293:36 @[ attention_bwd.py:19:19 ]
	s_and_saveexec_b32 s12, vcc_lo
	s_cbranch_execnz .LBB0_112
.LBB0_43:
	.loc	2 0 36                          ; standard.py:0:36
	s_or_b32 exec_lo, exec_lo, s12
	.loc	2 293 36                        ; standard.py:293:36 @[ attention_bwd.py:19:19 ]
	s_and_saveexec_b32 s12, vcc_lo
	s_cbranch_execnz .LBB0_113
.LBB0_44:
	.loc	2 0 36                          ; standard.py:0:36
	s_or_b32 exec_lo, exec_lo, s12
	.loc	2 293 36                        ; standard.py:293:36 @[ attention_bwd.py:19:19 ]
	s_and_saveexec_b32 s12, vcc_lo
	s_cbranch_execnz .LBB0_114
.LBB0_45:
	.loc	2 0 36                          ; standard.py:0:36
	s_or_b32 exec_lo, exec_lo, s12
	.loc	2 293 36                        ; standard.py:293:36 @[ attention_bwd.py:19:19 ]
	s_and_saveexec_b32 s12, vcc_lo
	s_cbranch_execnz .LBB0_115
.LBB0_46:
	.loc	2 0 36                          ; standard.py:0:36
	s_or_b32 exec_lo, exec_lo, s12
	.loc	2 293 36                        ; standard.py:293:36 @[ attention_bwd.py:19:19 ]
	s_and_saveexec_b32 s12, vcc_lo
	s_cbranch_execnz .LBB0_116
.LBB0_47:
	.loc	2 0 36                          ; standard.py:0:36
	s_or_b32 exec_lo, exec_lo, s12
	.loc	2 293 36                        ; standard.py:293:36 @[ attention_bwd.py:19:19 ]
	s_and_saveexec_b32 s12, vcc_lo
	s_cbranch_execnz .LBB0_117
.LBB0_48:
	.loc	2 0 36                          ; standard.py:0:36
	s_or_b32 exec_lo, exec_lo, s12
	.loc	2 293 36                        ; standard.py:293:36 @[ attention_bwd.py:19:19 ]
	s_and_saveexec_b32 s12, vcc_lo
	s_cbranch_execnz .LBB0_118
.LBB0_49:
	.loc	2 0 36                          ; standard.py:0:36
	s_or_b32 exec_lo, exec_lo, s12
	.loc	2 293 36                        ; standard.py:293:36 @[ attention_bwd.py:19:19 ]
	s_and_saveexec_b32 s12, vcc_lo
	s_cbranch_execnz .LBB0_119
.LBB0_50:
	.loc	2 0 36                          ; standard.py:0:36
	s_or_b32 exec_lo, exec_lo, s12
	.loc	2 293 36                        ; standard.py:293:36 @[ attention_bwd.py:19:19 ]
	s_and_saveexec_b32 s12, vcc_lo
	s_cbranch_execnz .LBB0_120
.LBB0_51:
	.loc	2 0 36                          ; standard.py:0:36
	s_or_b32 exec_lo, exec_lo, s12
	.loc	2 293 36                        ; standard.py:293:36 @[ attention_bwd.py:19:19 ]
	s_and_saveexec_b32 s12, vcc_lo
	s_cbranch_execnz .LBB0_121
.LBB0_52:
	.loc	2 0 36                          ; standard.py:0:36
	s_or_b32 exec_lo, exec_lo, s12
	.loc	2 293 36                        ; standard.py:293:36 @[ attention_bwd.py:19:19 ]
	s_and_saveexec_b32 s10, vcc_lo
	s_cbranch_execnz .LBB0_122
.LBB0_53:
	.loc	2 0 36                          ; standard.py:0:36
	s_or_b32 exec_lo, exec_lo, s10
	.loc	2 293 36                        ; standard.py:293:36 @[ attention_bwd.py:19:19 ]
	s_and_saveexec_b32 s4, vcc_lo
	s_cbranch_execnz .LBB0_123
.LBB0_54:
	.loc	2 0 36                          ; standard.py:0:36
	s_or_b32 exec_lo, exec_lo, s4
	.loc	2 293 36                        ; standard.py:293:36 @[ attention_bwd.py:19:19 ]
	s_and_saveexec_b32 s3, vcc_lo
	s_cbranch_execnz .LBB0_124
.LBB0_55:
	.loc	2 0 36                          ; standard.py:0:36
	s_or_b32 exec_lo, exec_lo, s3
	.loc	2 293 36                        ; standard.py:293:36 @[ attention_bwd.py:19:19 ]
	s_and_saveexec_b32 s3, vcc_lo
	s_cbranch_execnz .LBB0_125
.LBB0_56:
	.loc	2 0 36                          ; standard.py:0:36
	s_or_b32 exec_lo, exec_lo, s3
	.loc	2 293 36                        ; standard.py:293:36 @[ attention_bwd.py:19:19 ]
	s_and_saveexec_b32 s3, vcc_lo
	s_cbranch_execnz .LBB0_126
.LBB0_57:
	.loc	2 0 36                          ; standard.py:0:36
	s_or_b32 exec_lo, exec_lo, s3
	.loc	2 293 36                        ; standard.py:293:36 @[ attention_bwd.py:19:19 ]
	s_and_saveexec_b32 s3, vcc_lo
	s_cbranch_execnz .LBB0_127
.LBB0_58:
	.loc	2 0 36                          ; standard.py:0:36
	s_or_b32 exec_lo, exec_lo, s3
	.loc	2 293 36                        ; standard.py:293:36 @[ attention_bwd.py:19:19 ]
	s_and_saveexec_b32 s3, vcc_lo
	s_cbranch_execnz .LBB0_128
.LBB0_59:
	.loc	2 0 36                          ; standard.py:0:36
	s_or_b32 exec_lo, exec_lo, s3
	.loc	2 293 36                        ; standard.py:293:36 @[ attention_bwd.py:19:19 ]
	s_and_saveexec_b32 s2, vcc_lo
	s_cbranch_execnz .LBB0_129
.LBB0_60:
	.loc	2 0 36                          ; standard.py:0:36
	s_or_b32 exec_lo, exec_lo, s2
	.loc	2 293 36                        ; standard.py:293:36 @[ attention_bwd.py:19:19 ]
	s_and_saveexec_b32 s2, vcc_lo
	s_cbranch_execnz .LBB0_130
.LBB0_61:
	.loc	2 0 36                          ; standard.py:0:36
	s_or_b32 exec_lo, exec_lo, s2
	.loc	2 293 36                        ; standard.py:293:36 @[ attention_bwd.py:19:19 ]
	s_and_saveexec_b32 s2, vcc_lo
	s_cbranch_execnz .LBB0_131
.LBB0_62:
	.loc	2 0 36                          ; standard.py:0:36
	s_or_b32 exec_lo, exec_lo, s2
	.loc	2 293 36                        ; standard.py:293:36 @[ attention_bwd.py:19:19 ]
	s_and_saveexec_b32 s2, vcc_lo
	s_cbranch_execnz .LBB0_132
.LBB0_63:
	.loc	2 0 36                          ; standard.py:0:36
	s_or_b32 exec_lo, exec_lo, s2
	.loc	2 293 36                        ; standard.py:293:36 @[ attention_bwd.py:19:19 ]
	s_and_saveexec_b32 s2, vcc_lo
	s_cbranch_execz .LBB0_65
.LBB0_64:
	.loc	2 0 36                          ; standard.py:0:36
	v_lshl_add_u32 v1, v50, 3, 0
	.loc	2 293 36                        ; standard.py:293:36 @[ attention_bwd.py:19:19 ]
	v_mov_b32_e32 v2, s6
	s_delay_alu instid0(VALU_DEP_2)
	v_lshl_add_u32 v1, v29, 2, v1
	ds_store_b32 v1, v2
.LBB0_65:
	.loc	2 0 36                          ; standard.py:0:36
	s_or_b32 exec_lo, exec_lo, s2
	.loc	2 293 36                        ; standard.py:293:36 @[ attention_bwd.py:19:19 ]
	v_lshl_add_u32 v1, v0, 2, 0
	s_waitcnt lgkmcnt(0)
	s_barrier
	buffer_gl0_inv
	s_load_b64 s[0:1], s[0:1], 0x10
	ds_load_b32 v2, v1
	v_and_b32_e32 v4, 1, v0
	s_delay_alu instid0(VALU_DEP_1) | instskip(SKIP_2) | instid1(VALU_DEP_1)
	v_cmp_eq_u32_e32 vcc_lo, 0, v4
	s_waitcnt lgkmcnt(0)
	v_mov_b32_e32 v3, v2
	v_mov_b32_dpp v3, v3 quad_perm:[1,0,3,2] row_mask:0xf bank_mask:0xf
	s_and_saveexec_b32 s2, vcc_lo
; %bb.66:
	.loc	2 0 36                          ; standard.py:0:36
	s_delay_alu instid0(VALU_DEP_1)
	v_add_f32_e32 v2, v2, v3
	.loc	2 293 36                        ; standard.py:293:36 @[ attention_bwd.py:19:19 ]
	ds_store_b32 v1, v2
; %bb.67:
	.loc	2 0 36                          ; standard.py:0:36
	s_or_b32 exec_lo, exec_lo, s2
	.loc	2 293 36                        ; standard.py:293:36 @[ attention_bwd.py:19:19 ]
	ds_load_b32 v2, v1 offset:512
	s_waitcnt lgkmcnt(0)
	v_mov_b32_e32 v3, v2
	s_delay_alu instid0(VALU_DEP_1)
	v_mov_b32_dpp v3, v3 quad_perm:[1,0,3,2] row_mask:0xf bank_mask:0xf
	s_and_saveexec_b32 s2, vcc_lo
; %bb.68:
	.loc	2 0 36                          ; standard.py:0:36
	s_delay_alu instid0(VALU_DEP_1)
	v_add_f32_e32 v2, v2, v3
	.loc	2 293 36                        ; standard.py:293:36 @[ attention_bwd.py:19:19 ]
	ds_store_b32 v1, v2 offset:512
; %bb.69:
	.loc	2 0 36                          ; standard.py:0:36
	s_or_b32 exec_lo, exec_lo, s2
	.loc	2 293 36                        ; standard.py:293:36 @[ attention_bwd.py:19:19 ]
	s_waitcnt lgkmcnt(0)
	s_barrier
	buffer_gl0_inv
	ds_load_2addr_b32 v[1:2], v28 offset1:4
	ds_load_2addr_b32 v[3:4], v28 offset0:8 offset1:12
	ds_load_2addr_b32 v[5:6], v28 offset0:16 offset1:20
	;; [unrolled: 1-line block ×31, first 2 shown]
.Ltmp343:
	.loc	1 21 45 is_stmt 1               ; attention_bwd.py:21:45
	v_lshlrev_b32_e32 v25, 2, v0
	v_lshlrev_b32_e32 v26, 1, v0
	;; [unrolled: 1-line block ×3, first 2 shown]
	v_add_nc_u32_e32 v27, 0, v27
	.loc	1 13 41                         ; attention_bwd.py:13:41
	v_or_b32_e32 v0, s9, v0
	.loc	1 21 45                         ; attention_bwd.py:21:45
	v_and_b32_e32 v25, 0x180, v25
	v_and_b32_e32 v26, 60, v26
	;; [unrolled: 1-line block ×3, first 2 shown]
	.loc	1 21 21 is_stmt 0               ; attention_bwd.py:21:21
	s_ashr_i32 s9, s8, 31
	s_delay_alu instid0(VALU_DEP_3) | instskip(SKIP_1) | instid1(SALU_CYCLE_1)
	.loc	1 21 45                         ; attention_bwd.py:21:45
	v_add_nc_u32_e32 v25, 0, v25
	.loc	1 21 21                         ; attention_bwd.py:21:21
	s_lshl_b64 s[2:3], s[8:9], 2
	s_add_u32 s0, s0, s2
	s_addc_u32 s1, s1, s3
	s_delay_alu instid0(VALU_DEP_1)
	.loc	1 21 45                         ; attention_bwd.py:21:45
	v_add3_u32 v25, v25, v28, v26
	s_waitcnt lgkmcnt(0)
	s_barrier
	buffer_gl0_inv
	ds_store_b128 v27, v[1:4]
	ds_store_b128 v27, v[5:8] offset:16
	ds_store_b128 v27, v[9:12] offset:32
	ds_store_b128 v27, v[13:16] offset:48
	ds_store_b128 v27, v[17:20] offset:128
	ds_store_b128 v27, v[21:24] offset:144
	ds_store_b128 v27, v[29:32] offset:160
	ds_store_b128 v27, v[33:36] offset:176
	ds_store_b128 v27, v[37:40] offset:256
	ds_store_b128 v27, v[41:44] offset:272
	ds_store_b128 v27, v[45:48] offset:288
	ds_store_b128 v27, v[49:52] offset:304
	ds_store_b128 v27, v[53:56] offset:384
	ds_store_b128 v27, v[57:60] offset:400
	ds_store_b128 v27, v[61:64] offset:416
	ds_store_b128 v27, v[65:68] offset:432
	s_waitcnt lgkmcnt(0)
	s_barrier
	buffer_gl0_inv
	ds_load_b32 v2, v25
	.loc	1 21 38                         ; attention_bwd.py:21:38
	v_ashrrev_i32_e32 v1, 31, v0
	s_delay_alu instid0(VALU_DEP_1) | instskip(NEXT) | instid1(VALU_DEP_1)
	v_lshlrev_b64 v[0:1], 2, v[0:1]
	v_add_co_u32 v0, vcc_lo, s0, v0
	s_delay_alu instid0(VALU_DEP_1)
	v_add_co_ci_u32_e64 v1, null, s1, v1, vcc_lo
	.loc	1 21 45                         ; attention_bwd.py:21:45
	s_waitcnt lgkmcnt(0)
	global_store_b32 v[0:1], v2, off
	.loc	1 21 4                          ; attention_bwd.py:21:4
	s_nop 0
	s_sendmsg sendmsg(MSG_DEALLOC_VGPRS)
	s_endpgm
.LBB0_70:
	.loc	1 0 4                           ; attention_bwd.py:0:4
	s_delay_alu instid0(VALU_DEP_1)
	v_lshl_add_u32 v30, v29, 2, v28
.Ltmp344:
	.loc	2 293 36 is_stmt 1              ; standard.py:293:36 @[ attention_bwd.py:19:19 ]
	v_mov_b32_e32 v31, s45
	ds_store_b32 v30, v31
	s_or_b32 exec_lo, exec_lo, s69
	s_and_saveexec_b32 s45, vcc_lo
	s_cbranch_execz .LBB0_2
.LBB0_71:
	.loc	2 0 36 is_stmt 0                ; standard.py:0:36
	v_lshl_add_u32 v30, v48, 3, 0
	.loc	2 293 36                        ; standard.py:293:36 @[ attention_bwd.py:19:19 ]
	v_mov_b32_e32 v31, s66
	s_delay_alu instid0(VALU_DEP_2)
	v_lshl_add_u32 v30, v29, 2, v30
	ds_store_b32 v30, v31
	s_or_b32 exec_lo, exec_lo, s45
	s_and_saveexec_b32 s45, vcc_lo
	s_cbranch_execz .LBB0_3
.LBB0_72:
	.loc	2 0 36                          ; standard.py:0:36
	v_lshl_add_u32 v30, v47, 3, 0
	.loc	2 293 36                        ; standard.py:293:36 @[ attention_bwd.py:19:19 ]
	v_mov_b32_e32 v31, s62
	s_delay_alu instid0(VALU_DEP_2)
	v_lshl_add_u32 v30, v29, 2, v30
	ds_store_b32 v30, v31
	s_or_b32 exec_lo, exec_lo, s45
	s_and_saveexec_b32 s45, vcc_lo
	s_cbranch_execz .LBB0_4
.LBB0_73:
	.loc	2 0 36                          ; standard.py:0:36
	v_lshl_add_u32 v30, v49, 3, 0
	.loc	2 293 36                        ; standard.py:293:36 @[ attention_bwd.py:19:19 ]
	v_mov_b32_e32 v31, s58
	s_delay_alu instid0(VALU_DEP_2)
	v_lshl_add_u32 v30, v29, 2, v30
	ds_store_b32 v30, v31
	s_or_b32 exec_lo, exec_lo, s45
	s_and_saveexec_b32 s45, vcc_lo
	s_cbranch_execz .LBB0_5
.LBB0_74:
	.loc	2 0 36                          ; standard.py:0:36
	v_lshl_add_u32 v30, v68, 3, 0
	.loc	2 293 36                        ; standard.py:293:36 @[ attention_bwd.py:19:19 ]
	v_mov_b32_e32 v31, s53
	s_delay_alu instid0(VALU_DEP_2)
	v_lshl_add_u32 v30, v29, 2, v30
	ds_store_b32 v30, v31
	s_or_b32 exec_lo, exec_lo, s45
	s_and_saveexec_b32 s45, vcc_lo
	s_cbranch_execz .LBB0_6
.LBB0_75:
	.loc	2 0 36                          ; standard.py:0:36
	v_lshl_add_u32 v30, v67, 3, 0
	.loc	2 293 36                        ; standard.py:293:36 @[ attention_bwd.py:19:19 ]
	v_mov_b32_e32 v31, s47
	s_delay_alu instid0(VALU_DEP_2)
	v_lshl_add_u32 v30, v29, 2, v30
	ds_store_b32 v30, v31
	s_or_b32 exec_lo, exec_lo, s45
	s_and_saveexec_b32 s45, vcc_lo
	s_cbranch_execz .LBB0_7
.LBB0_76:
	.loc	2 0 36                          ; standard.py:0:36
	v_lshl_add_u32 v30, v66, 3, 0
	.loc	2 293 36                        ; standard.py:293:36 @[ attention_bwd.py:19:19 ]
	v_mov_b32_e32 v31, s67
	s_delay_alu instid0(VALU_DEP_2)
	v_lshl_add_u32 v30, v29, 2, v30
	ds_store_b32 v30, v31
	s_or_b32 exec_lo, exec_lo, s45
	s_and_saveexec_b32 s45, vcc_lo
	s_cbranch_execz .LBB0_8
.LBB0_77:
	.loc	2 0 36                          ; standard.py:0:36
	v_lshl_add_u32 v30, v65, 3, 0
	.loc	2 293 36                        ; standard.py:293:36 @[ attention_bwd.py:19:19 ]
	v_mov_b32_e32 v31, s64
	s_delay_alu instid0(VALU_DEP_2)
	v_lshl_add_u32 v30, v29, 2, v30
	ds_store_b32 v30, v31
	s_or_b32 exec_lo, exec_lo, s45
	s_and_saveexec_b32 s45, vcc_lo
	s_cbranch_execz .LBB0_9
.LBB0_78:
	.loc	2 0 36                          ; standard.py:0:36
	v_lshl_add_u32 v30, v63, 3, 0
	.loc	2 293 36                        ; standard.py:293:36 @[ attention_bwd.py:19:19 ]
	v_mov_b32_e32 v31, s60
	s_delay_alu instid0(VALU_DEP_2)
	v_lshl_add_u32 v30, v29, 2, v30
	ds_store_b32 v30, v31
	s_or_b32 exec_lo, exec_lo, s45
	s_and_saveexec_b32 s45, vcc_lo
	s_cbranch_execz .LBB0_10
.LBB0_79:
	.loc	2 0 36                          ; standard.py:0:36
	v_lshl_add_u32 v30, v62, 3, 0
	.loc	2 293 36                        ; standard.py:293:36 @[ attention_bwd.py:19:19 ]
	v_mov_b32_e32 v31, s55
	s_delay_alu instid0(VALU_DEP_2)
	v_lshl_add_u32 v30, v29, 2, v30
	ds_store_b32 v30, v31
	s_or_b32 exec_lo, exec_lo, s45
	s_and_saveexec_b32 s45, vcc_lo
	s_cbranch_execz .LBB0_11
.LBB0_80:
	.loc	2 0 36                          ; standard.py:0:36
	v_lshl_add_u32 v30, v61, 3, 0
	.loc	2 293 36                        ; standard.py:293:36 @[ attention_bwd.py:19:19 ]
	v_mov_b32_e32 v31, s49
	s_delay_alu instid0(VALU_DEP_2)
	v_lshl_add_u32 v30, v29, 2, v30
	ds_store_b32 v30, v31
	s_or_b32 exec_lo, exec_lo, s45
	s_and_saveexec_b32 s45, vcc_lo
	s_cbranch_execz .LBB0_12
.LBB0_81:
	.loc	2 0 36                          ; standard.py:0:36
	v_lshl_add_u32 v30, v60, 3, 0
	.loc	2 293 36                        ; standard.py:293:36 @[ attention_bwd.py:19:19 ]
	v_mov_b32_e32 v31, s68
	s_delay_alu instid0(VALU_DEP_2)
	v_lshl_add_u32 v30, v29, 2, v30
	ds_store_b32 v30, v31
	s_or_b32 exec_lo, exec_lo, s45
	s_and_saveexec_b32 s45, vcc_lo
	s_cbranch_execz .LBB0_13
.LBB0_82:
	.loc	2 0 36                          ; standard.py:0:36
	v_lshl_add_u32 v30, v59, 3, 0
	.loc	2 293 36                        ; standard.py:293:36 @[ attention_bwd.py:19:19 ]
	v_mov_b32_e32 v31, s65
	s_delay_alu instid0(VALU_DEP_2)
	v_lshl_add_u32 v30, v29, 2, v30
	ds_store_b32 v30, v31
	s_or_b32 exec_lo, exec_lo, s45
	s_and_saveexec_b32 s45, vcc_lo
	s_cbranch_execz .LBB0_14
.LBB0_83:
	.loc	2 0 36                          ; standard.py:0:36
	v_lshl_add_u32 v30, v58, 3, 0
	.loc	2 293 36                        ; standard.py:293:36 @[ attention_bwd.py:19:19 ]
	v_mov_b32_e32 v31, s61
	s_delay_alu instid0(VALU_DEP_2)
	v_lshl_add_u32 v30, v29, 2, v30
	ds_store_b32 v30, v31
	s_or_b32 exec_lo, exec_lo, s45
	s_and_saveexec_b32 s45, vcc_lo
	s_cbranch_execz .LBB0_15
.LBB0_84:
	.loc	2 0 36                          ; standard.py:0:36
	v_lshl_add_u32 v30, v57, 3, 0
	.loc	2 293 36                        ; standard.py:293:36 @[ attention_bwd.py:19:19 ]
	v_mov_b32_e32 v31, s56
	s_delay_alu instid0(VALU_DEP_2)
	v_lshl_add_u32 v30, v29, 2, v30
	ds_store_b32 v30, v31
	s_or_b32 exec_lo, exec_lo, s45
	s_and_saveexec_b32 s45, vcc_lo
	s_cbranch_execz .LBB0_16
.LBB0_85:
	.loc	2 0 36                          ; standard.py:0:36
	v_lshl_add_u32 v30, v56, 3, 0
	.loc	2 293 36                        ; standard.py:293:36 @[ attention_bwd.py:19:19 ]
	v_mov_b32_e32 v31, s50
	s_delay_alu instid0(VALU_DEP_2)
	v_lshl_add_u32 v30, v29, 2, v30
	ds_store_b32 v30, v31
	s_or_b32 exec_lo, exec_lo, s45
	s_and_saveexec_b32 s45, vcc_lo
	s_cbranch_execz .LBB0_17
.LBB0_86:
	.loc	2 0 36                          ; standard.py:0:36
	v_lshl_add_u32 v30, v55, 3, 0
	.loc	2 293 36                        ; standard.py:293:36 @[ attention_bwd.py:19:19 ]
	v_mov_b32_e32 v31, s63
	s_delay_alu instid0(VALU_DEP_2)
	v_lshl_add_u32 v30, v29, 2, v30
	ds_store_b32 v30, v31
	s_or_b32 exec_lo, exec_lo, s45
	s_and_saveexec_b32 s45, vcc_lo
	s_cbranch_execz .LBB0_18
.LBB0_87:
	.loc	2 0 36                          ; standard.py:0:36
	v_lshl_add_u32 v30, v54, 3, 0
	.loc	2 293 36                        ; standard.py:293:36 @[ attention_bwd.py:19:19 ]
	v_mov_b32_e32 v31, s59
	s_delay_alu instid0(VALU_DEP_2)
	v_lshl_add_u32 v30, v29, 2, v30
	ds_store_b32 v30, v31
	s_or_b32 exec_lo, exec_lo, s45
	s_and_saveexec_b32 s45, vcc_lo
	s_cbranch_execz .LBB0_19
.LBB0_88:
	.loc	2 0 36                          ; standard.py:0:36
	v_lshl_add_u32 v30, v53, 3, 0
	.loc	2 293 36                        ; standard.py:293:36 @[ attention_bwd.py:19:19 ]
	v_mov_b32_e32 v31, s54
	s_delay_alu instid0(VALU_DEP_2)
	v_lshl_add_u32 v30, v29, 2, v30
	ds_store_b32 v30, v31
	s_or_b32 exec_lo, exec_lo, s45
	s_and_saveexec_b32 s45, vcc_lo
	s_cbranch_execz .LBB0_20
.LBB0_89:
	.loc	2 0 36                          ; standard.py:0:36
	v_lshl_add_u32 v30, v52, 3, 0
	.loc	2 293 36                        ; standard.py:293:36 @[ attention_bwd.py:19:19 ]
	v_mov_b32_e32 v31, s48
	s_delay_alu instid0(VALU_DEP_2)
	v_lshl_add_u32 v30, v29, 2, v30
	ds_store_b32 v30, v31
	s_or_b32 exec_lo, exec_lo, s45
	s_and_saveexec_b32 s45, vcc_lo
	s_cbranch_execz .LBB0_21
.LBB0_90:
	.loc	2 0 36                          ; standard.py:0:36
	v_lshl_add_u32 v30, v51, 3, 0
	.loc	2 293 36                        ; standard.py:293:36 @[ attention_bwd.py:19:19 ]
	v_mov_b32_e32 v31, s42
	s_delay_alu instid0(VALU_DEP_2)
	v_lshl_add_u32 v30, v29, 2, v30
	ds_store_b32 v30, v31
	s_or_b32 exec_lo, exec_lo, s45
	s_and_saveexec_b32 s42, vcc_lo
	s_cbranch_execz .LBB0_22
.LBB0_91:
	.loc	2 0 36                          ; standard.py:0:36
	v_lshl_add_u32 v30, v64, 3, 0
	.loc	2 293 36                        ; standard.py:293:36 @[ attention_bwd.py:19:19 ]
	v_mov_b32_e32 v31, s57
	s_delay_alu instid0(VALU_DEP_2)
	v_lshl_add_u32 v30, v29, 2, v30
	ds_store_b32 v30, v31
	s_or_b32 exec_lo, exec_lo, s42
	s_and_saveexec_b32 s42, vcc_lo
	s_cbranch_execz .LBB0_23
.LBB0_92:
	.loc	2 0 36                          ; standard.py:0:36
	v_lshl_add_u32 v30, v70, 3, 0
	.loc	2 293 36                        ; standard.py:293:36 @[ attention_bwd.py:19:19 ]
	v_mov_b32_e32 v31, s52
	s_delay_alu instid0(VALU_DEP_2)
	v_lshl_add_u32 v30, v29, 2, v30
	ds_store_b32 v30, v31
	s_or_b32 exec_lo, exec_lo, s42
	s_and_saveexec_b32 s42, vcc_lo
	s_cbranch_execz .LBB0_24
.LBB0_93:
	.loc	2 0 36                          ; standard.py:0:36
	v_lshl_add_u32 v30, v71, 3, 0
	.loc	2 293 36                        ; standard.py:293:36 @[ attention_bwd.py:19:19 ]
	v_mov_b32_e32 v31, s46
	s_delay_alu instid0(VALU_DEP_2)
	v_lshl_add_u32 v30, v29, 2, v30
	ds_store_b32 v30, v31
	s_or_b32 exec_lo, exec_lo, s42
	s_and_saveexec_b32 s42, vcc_lo
	s_cbranch_execz .LBB0_25
.LBB0_94:
	.loc	2 0 36                          ; standard.py:0:36
	v_lshl_add_u32 v30, v72, 3, 0
	.loc	2 293 36                        ; standard.py:293:36 @[ attention_bwd.py:19:19 ]
	v_mov_b32_e32 v31, s41
	s_delay_alu instid0(VALU_DEP_2)
	v_lshl_add_u32 v30, v29, 2, v30
	ds_store_b32 v30, v31
	s_or_b32 exec_lo, exec_lo, s42
	s_and_saveexec_b32 s41, vcc_lo
	s_cbranch_execz .LBB0_26
.LBB0_95:
	.loc	2 0 36                          ; standard.py:0:36
	v_lshl_add_u32 v30, v73, 3, 0
	.loc	2 293 36                        ; standard.py:293:36 @[ attention_bwd.py:19:19 ]
	v_mov_b32_e32 v31, s36
	s_delay_alu instid0(VALU_DEP_2)
	v_lshl_add_u32 v30, v29, 2, v30
	ds_store_b32 v30, v31
	s_or_b32 exec_lo, exec_lo, s41
	s_and_saveexec_b32 s36, vcc_lo
	s_cbranch_execz .LBB0_27
.LBB0_96:
	.loc	2 0 36                          ; standard.py:0:36
	v_lshl_add_u32 v30, v74, 3, 0
	.loc	2 293 36                        ; standard.py:293:36 @[ attention_bwd.py:19:19 ]
	v_mov_b32_e32 v31, s51
	s_delay_alu instid0(VALU_DEP_2)
	v_lshl_add_u32 v30, v29, 2, v30
	ds_store_b32 v30, v31
	s_or_b32 exec_lo, exec_lo, s36
	s_and_saveexec_b32 s36, vcc_lo
	s_cbranch_execz .LBB0_28
.LBB0_97:
	.loc	2 0 36                          ; standard.py:0:36
	v_lshl_add_u32 v30, v75, 3, 0
	.loc	2 293 36                        ; standard.py:293:36 @[ attention_bwd.py:19:19 ]
	v_mov_b32_e32 v31, s44
	s_delay_alu instid0(VALU_DEP_2)
	v_lshl_add_u32 v30, v29, 2, v30
	ds_store_b32 v30, v31
	s_or_b32 exec_lo, exec_lo, s36
	s_and_saveexec_b32 s36, vcc_lo
	s_cbranch_execz .LBB0_29
.LBB0_98:
	.loc	2 0 36                          ; standard.py:0:36
	v_lshl_add_u32 v30, v76, 3, 0
	.loc	2 293 36                        ; standard.py:293:36 @[ attention_bwd.py:19:19 ]
	v_mov_b32_e32 v31, s40
	s_delay_alu instid0(VALU_DEP_2)
	v_lshl_add_u32 v30, v29, 2, v30
	ds_store_b32 v30, v31
	s_or_b32 exec_lo, exec_lo, s36
	s_and_saveexec_b32 s36, vcc_lo
	s_cbranch_execz .LBB0_30
.LBB0_99:
	.loc	2 0 36                          ; standard.py:0:36
	v_lshl_add_u32 v30, v77, 3, 0
	.loc	2 293 36                        ; standard.py:293:36 @[ attention_bwd.py:19:19 ]
	v_mov_b32_e32 v31, s34
	s_delay_alu instid0(VALU_DEP_2)
	v_lshl_add_u32 v30, v29, 2, v30
	ds_store_b32 v30, v31
	s_or_b32 exec_lo, exec_lo, s36
	s_and_saveexec_b32 s34, vcc_lo
	s_cbranch_execz .LBB0_31
.LBB0_100:
	.loc	2 0 36                          ; standard.py:0:36
	v_lshl_add_u32 v1, v1, 3, 0
	.loc	2 293 36                        ; standard.py:293:36 @[ attention_bwd.py:19:19 ]
	v_mov_b32_e32 v30, s28
	s_delay_alu instid0(VALU_DEP_2)
	v_lshl_add_u32 v1, v29, 2, v1
	ds_store_b32 v1, v30
	s_or_b32 exec_lo, exec_lo, s34
	s_and_saveexec_b32 s28, vcc_lo
	s_cbranch_execz .LBB0_32
.LBB0_101:
	.loc	2 0 36                          ; standard.py:0:36
	v_lshl_add_u32 v1, v2, 3, 0
	.loc	2 293 36                        ; standard.py:293:36 @[ attention_bwd.py:19:19 ]
	v_mov_b32_e32 v2, s43
	s_delay_alu instid0(VALU_DEP_2)
	v_lshl_add_u32 v1, v29, 2, v1
	ds_store_b32 v1, v2
	s_or_b32 exec_lo, exec_lo, s28
	s_and_saveexec_b32 s28, vcc_lo
	s_cbranch_execz .LBB0_33
.LBB0_102:
	.loc	2 0 36                          ; standard.py:0:36
	v_lshl_add_u32 v1, v3, 3, 0
	.loc	2 293 36                        ; standard.py:293:36 @[ attention_bwd.py:19:19 ]
	v_mov_b32_e32 v2, s39
	s_delay_alu instid0(VALU_DEP_2)
	v_lshl_add_u32 v1, v29, 2, v1
	ds_store_b32 v1, v2
	s_or_b32 exec_lo, exec_lo, s28
	s_and_saveexec_b32 s28, vcc_lo
	s_cbranch_execz .LBB0_34
.LBB0_103:
	.loc	2 0 36                          ; standard.py:0:36
	v_lshl_add_u32 v1, v5, 3, 0
	.loc	2 293 36                        ; standard.py:293:36 @[ attention_bwd.py:19:19 ]
	v_mov_b32_e32 v2, s31
	s_delay_alu instid0(VALU_DEP_2)
	v_lshl_add_u32 v1, v29, 2, v1
	ds_store_b32 v1, v2
	s_or_b32 exec_lo, exec_lo, s28
	s_and_saveexec_b32 s28, vcc_lo
	s_cbranch_execz .LBB0_35
.LBB0_104:
	.loc	2 0 36                          ; standard.py:0:36
	v_lshl_add_u32 v1, v4, 3, 0
	.loc	2 293 36                        ; standard.py:293:36 @[ attention_bwd.py:19:19 ]
	v_mov_b32_e32 v2, s25
	s_delay_alu instid0(VALU_DEP_2)
	v_lshl_add_u32 v1, v29, 2, v1
	ds_store_b32 v1, v2
	s_or_b32 exec_lo, exec_lo, s28
	s_and_saveexec_b32 s25, vcc_lo
	s_cbranch_execz .LBB0_36
.LBB0_105:
	.loc	2 0 36                          ; standard.py:0:36
	v_lshl_add_u32 v1, v6, 3, 0
	.loc	2 293 36                        ; standard.py:293:36 @[ attention_bwd.py:19:19 ]
	v_mov_b32_e32 v2, s18
	s_delay_alu instid0(VALU_DEP_2)
	v_lshl_add_u32 v1, v29, 2, v1
	ds_store_b32 v1, v2
	s_or_b32 exec_lo, exec_lo, s25
	s_and_saveexec_b32 s18, vcc_lo
	s_cbranch_execz .LBB0_37
.LBB0_106:
	.loc	2 0 36                          ; standard.py:0:36
	v_lshl_add_u32 v1, v7, 3, 0
	.loc	2 293 36                        ; standard.py:293:36 @[ attention_bwd.py:19:19 ]
	v_mov_b32_e32 v2, s37
	s_delay_alu instid0(VALU_DEP_2)
	v_lshl_add_u32 v1, v29, 2, v1
	ds_store_b32 v1, v2
	s_or_b32 exec_lo, exec_lo, s18
	s_and_saveexec_b32 s18, vcc_lo
	s_cbranch_execz .LBB0_38
.LBB0_107:
	.loc	2 0 36                          ; standard.py:0:36
	v_lshl_add_u32 v1, v8, 3, 0
	.loc	2 293 36                        ; standard.py:293:36 @[ attention_bwd.py:19:19 ]
	v_mov_b32_e32 v2, s30
	s_delay_alu instid0(VALU_DEP_2)
	v_lshl_add_u32 v1, v29, 2, v1
	ds_store_b32 v1, v2
	s_or_b32 exec_lo, exec_lo, s18
	s_and_saveexec_b32 s18, vcc_lo
	s_cbranch_execz .LBB0_39
.LBB0_108:
	.loc	2 0 36                          ; standard.py:0:36
	v_lshl_add_u32 v1, v9, 3, 0
	.loc	2 293 36                        ; standard.py:293:36 @[ attention_bwd.py:19:19 ]
	v_mov_b32_e32 v2, s23
	s_delay_alu instid0(VALU_DEP_2)
	v_lshl_add_u32 v1, v29, 2, v1
	ds_store_b32 v1, v2
	s_or_b32 exec_lo, exec_lo, s18
	s_and_saveexec_b32 s18, vcc_lo
	s_cbranch_execz .LBB0_40
.LBB0_109:
	.loc	2 0 36                          ; standard.py:0:36
	v_lshl_add_u32 v1, v10, 3, 0
	.loc	2 293 36                        ; standard.py:293:36 @[ attention_bwd.py:19:19 ]
	v_mov_b32_e32 v2, s17
	s_delay_alu instid0(VALU_DEP_2)
	v_lshl_add_u32 v1, v29, 2, v1
	ds_store_b32 v1, v2
	s_or_b32 exec_lo, exec_lo, s18
	s_and_saveexec_b32 s17, vcc_lo
	s_cbranch_execz .LBB0_41
.LBB0_110:
	.loc	2 0 36                          ; standard.py:0:36
	v_lshl_add_u32 v1, v11, 3, 0
	.loc	2 293 36                        ; standard.py:293:36 @[ attention_bwd.py:19:19 ]
	v_mov_b32_e32 v2, s12
	s_delay_alu instid0(VALU_DEP_2)
	v_lshl_add_u32 v1, v29, 2, v1
	ds_store_b32 v1, v2
	s_or_b32 exec_lo, exec_lo, s17
	s_and_saveexec_b32 s12, vcc_lo
	s_cbranch_execz .LBB0_42
.LBB0_111:
	.loc	2 0 36                          ; standard.py:0:36
	v_lshl_add_u32 v1, v12, 3, 0
	.loc	2 293 36                        ; standard.py:293:36 @[ attention_bwd.py:19:19 ]
	v_mov_b32_e32 v2, s35
	s_delay_alu instid0(VALU_DEP_2)
	v_lshl_add_u32 v1, v29, 2, v1
	ds_store_b32 v1, v2
	s_or_b32 exec_lo, exec_lo, s12
	s_and_saveexec_b32 s12, vcc_lo
	s_cbranch_execz .LBB0_43
.LBB0_112:
	.loc	2 0 36                          ; standard.py:0:36
	v_lshl_add_u32 v1, v13, 3, 0
	.loc	2 293 36                        ; standard.py:293:36 @[ attention_bwd.py:19:19 ]
	v_mov_b32_e32 v2, s29
	s_delay_alu instid0(VALU_DEP_2)
	v_lshl_add_u32 v1, v29, 2, v1
	ds_store_b32 v1, v2
	s_or_b32 exec_lo, exec_lo, s12
	s_and_saveexec_b32 s12, vcc_lo
	s_cbranch_execz .LBB0_44
.LBB0_113:
	.loc	2 0 36                          ; standard.py:0:36
	v_lshl_add_u32 v1, v14, 3, 0
	.loc	2 293 36                        ; standard.py:293:36 @[ attention_bwd.py:19:19 ]
	v_mov_b32_e32 v2, s27
	s_delay_alu instid0(VALU_DEP_2)
	v_lshl_add_u32 v1, v29, 2, v1
	ds_store_b32 v1, v2
	s_or_b32 exec_lo, exec_lo, s12
	s_and_saveexec_b32 s12, vcc_lo
	s_cbranch_execz .LBB0_45
.LBB0_114:
	.loc	2 0 36                          ; standard.py:0:36
	v_lshl_add_u32 v1, v15, 3, 0
	.loc	2 293 36                        ; standard.py:293:36 @[ attention_bwd.py:19:19 ]
	v_mov_b32_e32 v2, s21
	s_delay_alu instid0(VALU_DEP_2)
	v_lshl_add_u32 v1, v29, 2, v1
	ds_store_b32 v1, v2
	s_or_b32 exec_lo, exec_lo, s12
	s_and_saveexec_b32 s12, vcc_lo
	s_cbranch_execz .LBB0_46
.LBB0_115:
	.loc	2 0 36                          ; standard.py:0:36
	v_lshl_add_u32 v1, v16, 3, 0
	.loc	2 293 36                        ; standard.py:293:36 @[ attention_bwd.py:19:19 ]
	v_mov_b32_e32 v2, s16
	s_delay_alu instid0(VALU_DEP_2)
	v_lshl_add_u32 v1, v29, 2, v1
	ds_store_b32 v1, v2
	s_or_b32 exec_lo, exec_lo, s12
	s_and_saveexec_b32 s12, vcc_lo
	s_cbranch_execz .LBB0_47
.LBB0_116:
	.loc	2 0 36                          ; standard.py:0:36
	v_lshl_add_u32 v1, v17, 3, 0
	.loc	2 293 36                        ; standard.py:293:36 @[ attention_bwd.py:19:19 ]
	v_mov_b32_e32 v2, s38
	s_delay_alu instid0(VALU_DEP_2)
	v_lshl_add_u32 v1, v29, 2, v1
	ds_store_b32 v1, v2
	s_or_b32 exec_lo, exec_lo, s12
	s_and_saveexec_b32 s12, vcc_lo
	s_cbranch_execz .LBB0_48
.LBB0_117:
	.loc	2 0 36                          ; standard.py:0:36
	v_lshl_add_u32 v1, v18, 3, 0
	.loc	2 293 36                        ; standard.py:293:36 @[ attention_bwd.py:19:19 ]
	v_mov_b32_e32 v2, s33
	s_delay_alu instid0(VALU_DEP_2)
	v_lshl_add_u32 v1, v29, 2, v1
	ds_store_b32 v1, v2
	s_or_b32 exec_lo, exec_lo, s12
	s_and_saveexec_b32 s12, vcc_lo
	s_cbranch_execz .LBB0_49
.LBB0_118:
	.loc	2 0 36                          ; standard.py:0:36
	v_lshl_add_u32 v1, v19, 3, 0
	.loc	2 293 36                        ; standard.py:293:36 @[ attention_bwd.py:19:19 ]
	v_mov_b32_e32 v2, s26
	s_delay_alu instid0(VALU_DEP_2)
	v_lshl_add_u32 v1, v29, 2, v1
	ds_store_b32 v1, v2
	s_or_b32 exec_lo, exec_lo, s12
	s_and_saveexec_b32 s12, vcc_lo
	s_cbranch_execz .LBB0_50
.LBB0_119:
	.loc	2 0 36                          ; standard.py:0:36
	v_lshl_add_u32 v1, v20, 3, 0
	.loc	2 293 36                        ; standard.py:293:36 @[ attention_bwd.py:19:19 ]
	v_mov_b32_e32 v2, s22
	s_delay_alu instid0(VALU_DEP_2)
	v_lshl_add_u32 v1, v29, 2, v1
	ds_store_b32 v1, v2
	s_or_b32 exec_lo, exec_lo, s12
	s_and_saveexec_b32 s12, vcc_lo
	s_cbranch_execz .LBB0_51
.LBB0_120:
	.loc	2 0 36                          ; standard.py:0:36
	v_lshl_add_u32 v1, v21, 3, 0
	.loc	2 293 36                        ; standard.py:293:36 @[ attention_bwd.py:19:19 ]
	v_mov_b32_e32 v2, s15
	s_delay_alu instid0(VALU_DEP_2)
	v_lshl_add_u32 v1, v29, 2, v1
	ds_store_b32 v1, v2
	s_or_b32 exec_lo, exec_lo, s12
	s_and_saveexec_b32 s12, vcc_lo
	s_cbranch_execz .LBB0_52
.LBB0_121:
	.loc	2 0 36                          ; standard.py:0:36
	v_lshl_add_u32 v1, v22, 3, 0
	.loc	2 293 36                        ; standard.py:293:36 @[ attention_bwd.py:19:19 ]
	v_mov_b32_e32 v2, s10
	s_delay_alu instid0(VALU_DEP_2)
	v_lshl_add_u32 v1, v29, 2, v1
	ds_store_b32 v1, v2
	s_or_b32 exec_lo, exec_lo, s12
	s_and_saveexec_b32 s10, vcc_lo
	s_cbranch_execz .LBB0_53
.LBB0_122:
	.loc	2 0 36                          ; standard.py:0:36
	v_lshl_add_u32 v1, v23, 3, 0
	.loc	2 293 36                        ; standard.py:293:36 @[ attention_bwd.py:19:19 ]
	v_mov_b32_e32 v2, s4
	s_delay_alu instid0(VALU_DEP_2)
	v_lshl_add_u32 v1, v29, 2, v1
	ds_store_b32 v1, v2
	s_or_b32 exec_lo, exec_lo, s10
	s_and_saveexec_b32 s4, vcc_lo
	s_cbranch_execz .LBB0_54
.LBB0_123:
	.loc	2 0 36                          ; standard.py:0:36
	v_lshl_add_u32 v1, v24, 3, 0
	.loc	2 293 36                        ; standard.py:293:36 @[ attention_bwd.py:19:19 ]
	v_mov_b32_e32 v2, s3
	s_delay_alu instid0(VALU_DEP_2)
	v_lshl_add_u32 v1, v29, 2, v1
	ds_store_b32 v1, v2
	s_or_b32 exec_lo, exec_lo, s4
	s_and_saveexec_b32 s3, vcc_lo
	s_cbranch_execz .LBB0_55
.LBB0_124:
	.loc	2 0 36                          ; standard.py:0:36
	v_lshl_add_u32 v1, v25, 3, 0
	.loc	2 293 36                        ; standard.py:293:36 @[ attention_bwd.py:19:19 ]
	v_mov_b32_e32 v2, s19
	s_delay_alu instid0(VALU_DEP_2)
	v_lshl_add_u32 v1, v29, 2, v1
	ds_store_b32 v1, v2
	s_or_b32 exec_lo, exec_lo, s3
	s_and_saveexec_b32 s3, vcc_lo
	s_cbranch_execz .LBB0_56
.LBB0_125:
	.loc	2 0 36                          ; standard.py:0:36
	v_lshl_add_u32 v1, v26, 3, 0
	.loc	2 293 36                        ; standard.py:293:36 @[ attention_bwd.py:19:19 ]
	v_mov_b32_e32 v2, s14
	s_delay_alu instid0(VALU_DEP_2)
	v_lshl_add_u32 v1, v29, 2, v1
	ds_store_b32 v1, v2
	s_or_b32 exec_lo, exec_lo, s3
	s_and_saveexec_b32 s3, vcc_lo
	s_cbranch_execz .LBB0_57
.LBB0_126:
	.loc	2 0 36                          ; standard.py:0:36
	v_lshl_add_u32 v1, v78, 3, 0
	.loc	2 293 36                        ; standard.py:293:36 @[ attention_bwd.py:19:19 ]
	v_mov_b32_e32 v2, s7
	s_delay_alu instid0(VALU_DEP_2)
	v_lshl_add_u32 v1, v29, 2, v1
	ds_store_b32 v1, v2
	s_or_b32 exec_lo, exec_lo, s3
	s_and_saveexec_b32 s3, vcc_lo
	s_cbranch_execz .LBB0_58
.LBB0_127:
	.loc	2 0 36                          ; standard.py:0:36
	v_lshl_add_u32 v1, v81, 3, 0
	.loc	2 293 36                        ; standard.py:293:36 @[ attention_bwd.py:19:19 ]
	v_mov_b32_e32 v2, s5
	s_delay_alu instid0(VALU_DEP_2)
	v_lshl_add_u32 v1, v29, 2, v1
	ds_store_b32 v1, v2
	s_or_b32 exec_lo, exec_lo, s3
	s_and_saveexec_b32 s3, vcc_lo
	s_cbranch_execz .LBB0_59
.LBB0_128:
	.loc	2 0 36                          ; standard.py:0:36
	v_lshl_add_u32 v1, v86, 3, 0
	.loc	2 293 36                        ; standard.py:293:36 @[ attention_bwd.py:19:19 ]
	v_mov_b32_e32 v2, s2
	s_delay_alu instid0(VALU_DEP_2)
	v_lshl_add_u32 v1, v29, 2, v1
	ds_store_b32 v1, v2
	s_or_b32 exec_lo, exec_lo, s3
	s_and_saveexec_b32 s2, vcc_lo
	s_cbranch_execz .LBB0_60
.LBB0_129:
	.loc	2 0 36                          ; standard.py:0:36
	v_lshl_add_u32 v1, v88, 3, 0
	.loc	2 293 36                        ; standard.py:293:36 @[ attention_bwd.py:19:19 ]
	v_mov_b32_e32 v2, s24
	s_delay_alu instid0(VALU_DEP_2)
	v_lshl_add_u32 v1, v29, 2, v1
	ds_store_b32 v1, v2
	s_or_b32 exec_lo, exec_lo, s2
	s_and_saveexec_b32 s2, vcc_lo
	s_cbranch_execz .LBB0_61
.LBB0_130:
	.loc	2 0 36                          ; standard.py:0:36
	v_lshl_add_u32 v1, v93, 3, 0
	.loc	2 293 36                        ; standard.py:293:36 @[ attention_bwd.py:19:19 ]
	v_mov_b32_e32 v2, s20
	s_delay_alu instid0(VALU_DEP_2)
	v_lshl_add_u32 v1, v29, 2, v1
	ds_store_b32 v1, v2
	s_or_b32 exec_lo, exec_lo, s2
	s_and_saveexec_b32 s2, vcc_lo
	s_cbranch_execz .LBB0_62
.LBB0_131:
	.loc	2 0 36                          ; standard.py:0:36
	v_lshl_add_u32 v1, v94, 3, 0
	.loc	2 293 36                        ; standard.py:293:36 @[ attention_bwd.py:19:19 ]
	v_mov_b32_e32 v2, s13
	s_delay_alu instid0(VALU_DEP_2)
	v_lshl_add_u32 v1, v29, 2, v1
	ds_store_b32 v1, v2
	s_or_b32 exec_lo, exec_lo, s2
	s_and_saveexec_b32 s2, vcc_lo
	s_cbranch_execz .LBB0_63
.LBB0_132:
	.loc	2 0 36                          ; standard.py:0:36
	v_lshl_add_u32 v1, v92, 3, 0
	.loc	2 293 36                        ; standard.py:293:36 @[ attention_bwd.py:19:19 ]
	v_mov_b32_e32 v2, s11
	s_delay_alu instid0(VALU_DEP_2)
	v_lshl_add_u32 v1, v29, 2, v1
	ds_store_b32 v1, v2
	s_or_b32 exec_lo, exec_lo, s2
	s_and_saveexec_b32 s2, vcc_lo
	s_cbranch_execnz .LBB0_64
	s_branch .LBB0_65
.Ltmp345:
	.section	.rodata,"a",@progbits
	.p2align	6, 0x0
	.amdhsa_kernel _attn_bwd_preprocess
		.amdhsa_group_segment_fixed_size 0
		.amdhsa_private_segment_fixed_size 0
		.amdhsa_kernarg_size 56
		.amdhsa_user_sgpr_count 14
		.amdhsa_user_sgpr_dispatch_ptr 0
		.amdhsa_user_sgpr_queue_ptr 0
		.amdhsa_user_sgpr_kernarg_segment_ptr 1
		.amdhsa_user_sgpr_dispatch_id 0
		.amdhsa_user_sgpr_private_segment_size 0
		.amdhsa_wavefront_size32 1
		.amdhsa_uses_dynamic_stack 0
		.amdhsa_enable_private_segment 0
		.amdhsa_system_sgpr_workgroup_id_x 1
		.amdhsa_system_sgpr_workgroup_id_y 1
		.amdhsa_system_sgpr_workgroup_id_z 0
		.amdhsa_system_sgpr_workgroup_info 0
		.amdhsa_system_vgpr_workitem_id 0
		.amdhsa_next_free_vgpr 150
		.amdhsa_next_free_sgpr 70
		.amdhsa_reserve_vcc 1
		.amdhsa_float_round_mode_32 0
		.amdhsa_float_round_mode_16_64 0
		.amdhsa_float_denorm_mode_32 3
		.amdhsa_float_denorm_mode_16_64 3
		.amdhsa_dx10_clamp 1
		.amdhsa_ieee_mode 1
		.amdhsa_fp16_overflow 0
		.amdhsa_workgroup_processor_mode 1
		.amdhsa_memory_ordered 1
		.amdhsa_forward_progress 1
		.amdhsa_shared_vgpr_count 0
		.amdhsa_inst_pref_size 63
		.amdhsa_exception_fp_ieee_invalid_op 0
		.amdhsa_exception_fp_denorm_src 0
		.amdhsa_exception_fp_ieee_div_zero 0
		.amdhsa_exception_fp_ieee_overflow 0
		.amdhsa_exception_fp_ieee_underflow 0
		.amdhsa_exception_fp_ieee_inexact 0
		.amdhsa_exception_int_div_zero 0
	.end_amdhsa_kernel
	.text
.Lfunc_end0:
	.size	_attn_bwd_preprocess, .Lfunc_end0-_attn_bwd_preprocess
	.cfi_endproc
                                        ; -- End function
	.set _attn_bwd_preprocess.num_vgpr, 150
	.set _attn_bwd_preprocess.num_agpr, 0
	.set _attn_bwd_preprocess.numbered_sgpr, 70
	.set _attn_bwd_preprocess.num_named_barrier, 0
	.set _attn_bwd_preprocess.private_seg_size, 0
	.set _attn_bwd_preprocess.uses_vcc, 1
	.set _attn_bwd_preprocess.uses_flat_scratch, 0
	.set _attn_bwd_preprocess.has_dyn_sized_stack, 0
	.set _attn_bwd_preprocess.has_recursion, 0
	.set _attn_bwd_preprocess.has_indirect_call, 0
	.section	.AMDGPU.csdata,"",@progbits
; Kernel info:
; codeLenInByte = 17536
; TotalNumSgprs: 72
; NumVgprs: 150
; ScratchSize: 0
; MemoryBound: 0
; FloatMode: 240
; IeeeMode: 1
; LDSByteSize: 0 bytes/workgroup (compile time only)
; SGPRBlocks: 0
; VGPRBlocks: 18
; NumSGPRsForWavesPerEU: 72
; NumVGPRsForWavesPerEU: 150
; Occupancy: 9
; WaveLimiterHint : 0
; COMPUTE_PGM_RSRC2:SCRATCH_EN: 0
; COMPUTE_PGM_RSRC2:USER_SGPR: 14
; COMPUTE_PGM_RSRC2:TRAP_HANDLER: 0
; COMPUTE_PGM_RSRC2:TGID_X_EN: 1
; COMPUTE_PGM_RSRC2:TGID_Y_EN: 1
; COMPUTE_PGM_RSRC2:TGID_Z_EN: 0
; COMPUTE_PGM_RSRC2:TIDIG_COMP_CNT: 0
	.text
	.p2alignl 7, 3214868480
	.fill 96, 4, 3214868480
	.section	.AMDGPU.gpr_maximums,"",@progbits
	.set amdgpu.max_num_vgpr, 0
	.set amdgpu.max_num_agpr, 0
	.set amdgpu.max_num_sgpr, 0
	.set amdgpu.max_num_named_barrier, 0
	.text
	.section	.debug_abbrev,"",@progbits
	.byte	1                               ; Abbreviation Code
	.byte	17                              ; DW_TAG_compile_unit
	.byte	1                               ; DW_CHILDREN_yes
	.byte	37                              ; DW_AT_producer
	.byte	14                              ; DW_FORM_strp
	.byte	19                              ; DW_AT_language
	.byte	5                               ; DW_FORM_data2
	.byte	3                               ; DW_AT_name
	.byte	14                              ; DW_FORM_strp
	.byte	16                              ; DW_AT_stmt_list
	.byte	23                              ; DW_FORM_sec_offset
	.byte	27                              ; DW_AT_comp_dir
	.byte	14                              ; DW_FORM_strp
	.byte	17                              ; DW_AT_low_pc
	.byte	1                               ; DW_FORM_addr
	.byte	18                              ; DW_AT_high_pc
	.byte	6                               ; DW_FORM_data4
	.byte	0                               ; EOM(1)
	.byte	0                               ; EOM(2)
	.byte	2                               ; Abbreviation Code
	.byte	46                              ; DW_TAG_subprogram
	.byte	0                               ; DW_CHILDREN_no
	.byte	3                               ; DW_AT_name
	.byte	14                              ; DW_FORM_strp
	.byte	32                              ; DW_AT_inline
	.byte	11                              ; DW_FORM_data1
	.byte	0                               ; EOM(1)
	.byte	0                               ; EOM(2)
	.byte	3                               ; Abbreviation Code
	.byte	46                              ; DW_TAG_subprogram
	.byte	1                               ; DW_CHILDREN_yes
	.byte	17                              ; DW_AT_low_pc
	.byte	1                               ; DW_FORM_addr
	.byte	18                              ; DW_AT_high_pc
	.byte	6                               ; DW_FORM_data4
	.byte	49                              ; DW_AT_abstract_origin
	.byte	19                              ; DW_FORM_ref4
	.byte	0                               ; EOM(1)
	.byte	0                               ; EOM(2)
	.byte	4                               ; Abbreviation Code
	.byte	29                              ; DW_TAG_inlined_subroutine
	.byte	1                               ; DW_CHILDREN_yes
	.byte	49                              ; DW_AT_abstract_origin
	.byte	19                              ; DW_FORM_ref4
	.byte	85                              ; DW_AT_ranges
	.byte	23                              ; DW_FORM_sec_offset
	.byte	88                              ; DW_AT_call_file
	.byte	11                              ; DW_FORM_data1
	.byte	89                              ; DW_AT_call_line
	.byte	11                              ; DW_FORM_data1
	.byte	87                              ; DW_AT_call_column
	.byte	11                              ; DW_FORM_data1
	.byte	0                               ; EOM(1)
	.byte	0                               ; EOM(2)
	.byte	5                               ; Abbreviation Code
	.byte	29                              ; DW_TAG_inlined_subroutine
	.byte	0                               ; DW_CHILDREN_no
	.byte	49                              ; DW_AT_abstract_origin
	.byte	19                              ; DW_FORM_ref4
	.byte	85                              ; DW_AT_ranges
	.byte	23                              ; DW_FORM_sec_offset
	.byte	88                              ; DW_AT_call_file
	.byte	11                              ; DW_FORM_data1
	.byte	89                              ; DW_AT_call_line
	.byte	5                               ; DW_FORM_data2
	.byte	87                              ; DW_AT_call_column
	.byte	11                              ; DW_FORM_data1
	.byte	0                               ; EOM(1)
	.byte	0                               ; EOM(2)
	.byte	0                               ; EOM(3)
	.section	.debug_info,"",@progbits
.Lcu_begin0:
	.long	.Ldebug_info_end0-.Ldebug_info_start0 ; Length of Unit
.Ldebug_info_start0:
	.short	4                               ; DWARF version number
	.long	.debug_abbrev                   ; Offset Into Abbrev. Section
	.byte	8                               ; Address Size (in bytes)
	.byte	1                               ; Abbrev [1] 0xb:0x52 DW_TAG_compile_unit
	.long	.Linfo_string0                  ; DW_AT_producer
	.short	2                               ; DW_AT_language
	.long	.Linfo_string1                  ; DW_AT_name
	.long	.Lline_table_start0             ; DW_AT_stmt_list
	.long	.Linfo_string2                  ; DW_AT_comp_dir
	.quad	.Lfunc_begin0                   ; DW_AT_low_pc
	.long	.Lfunc_end0-.Lfunc_begin0       ; DW_AT_high_pc
	.byte	2                               ; Abbrev [2] 0x2a:0x6 DW_TAG_subprogram
	.long	.Linfo_string3                  ; DW_AT_name
	.byte	1                               ; DW_AT_inline
	.byte	3                               ; Abbrev [3] 0x30:0x2c DW_TAG_subprogram
	.quad	.Lfunc_begin0                   ; DW_AT_low_pc
	.long	.Lfunc_end0-.Lfunc_begin0       ; DW_AT_high_pc
	.long	42                              ; DW_AT_abstract_origin
	.byte	4                               ; Abbrev [4] 0x41:0x1a DW_TAG_inlined_subroutine
	.long	42                              ; DW_AT_abstract_origin
	.long	.Ldebug_ranges0                 ; DW_AT_ranges
	.byte	1                               ; DW_AT_call_file
	.byte	19                              ; DW_AT_call_line
	.byte	19                              ; DW_AT_call_column
	.byte	5                               ; Abbrev [5] 0x4d:0xd DW_TAG_inlined_subroutine
	.long	42                              ; DW_AT_abstract_origin
	.long	.Ldebug_ranges1                 ; DW_AT_ranges
	.byte	2                               ; DW_AT_call_file
	.short	293                             ; DW_AT_call_line
	.byte	36                              ; DW_AT_call_column
	.byte	0                               ; End Of Children Mark
	.byte	0                               ; End Of Children Mark
	;; [unrolled: 1-line block ×3, first 2 shown]
.Ldebug_info_end0:
	.section	.debug_ranges,"",@progbits
.Ldebug_ranges0:
	.quad	.Ltmp1-.Lfunc_begin0
	.quad	.Ltmp2-.Lfunc_begin0
	;; [unrolled: 1-line block ×148, first 2 shown]
	.quad	0
	.quad	0
.Ldebug_ranges1:
	.quad	.Ltmp4-.Lfunc_begin0
	.quad	.Ltmp5-.Lfunc_begin0
	;; [unrolled: 1-line block ×274, first 2 shown]
	.quad	0
	.quad	0
	.section	.debug_str,"MS",@progbits,1
.Linfo_string0:
	.asciz	"triton"                        ; string offset=0
.Linfo_string1:
	.asciz	"attention_bwd.py"              ; string offset=7
.Linfo_string2:
	.asciz	"/root/src/amdgpu-assembly/repos/triton-lang__triton-aot" ; string offset=24
.Linfo_string3:
	.asciz	"_attn_bwd_preprocess"          ; string offset=80
	.section	".note.GNU-stack","",@progbits
	.amdgpu_metadata
---
amdhsa.kernels:
  - .args:
      - .address_space:  global
        .offset:         0
        .size:           8
        .value_kind:     global_buffer
      - .address_space:  global
        .offset:         8
        .size:           8
        .value_kind:     global_buffer
      - .address_space:  global
        .offset:         16
        .size:           8
        .value_kind:     global_buffer
      - .offset:         24
        .size:           4
        .value_kind:     by_value
      - .offset:         28
        .size:           4
        .value_kind:     by_value
      - .offset:         32
        .size:           4
        .value_kind:     by_value
      - .address_space:  global
        .offset:         40
        .size:           8
        .value_kind:     global_buffer
      - .address_space:  global
        .offset:         48
        .size:           8
        .value_kind:     global_buffer
    .group_segment_fixed_size: 0
    .kernarg_segment_align: 8
    .kernarg_segment_size: 56
    .max_flat_workgroup_size: 128
    .name:           _attn_bwd_preprocess
    .private_segment_fixed_size: 0
    .sgpr_count:     72
    .sgpr_spill_count: 0
    .symbol:         _attn_bwd_preprocess.kd
    .uniform_work_group_size: 1
    .uses_dynamic_stack: false
    .vgpr_count:     150
    .vgpr_spill_count: 0
    .wavefront_size: 32
    .workgroup_processor_mode: 1
amdhsa.target:   amdgcn-amd-amdhsa--gfx1100
amdhsa.version:
  - 1
  - 2
...

	.end_amdgpu_metadata
	.section	.debug_line,"",@progbits
.Lline_table_start0:
